;; amdgpu-corpus repo=ROCm/rocFFT kind=compiled arch=gfx1201 opt=O3
	.text
	.amdgcn_target "amdgcn-amd-amdhsa--gfx1201"
	.amdhsa_code_object_version 6
	.protected	bluestein_single_back_len1680_dim1_dp_op_CI_CI ; -- Begin function bluestein_single_back_len1680_dim1_dp_op_CI_CI
	.globl	bluestein_single_back_len1680_dim1_dp_op_CI_CI
	.p2align	8
	.type	bluestein_single_back_len1680_dim1_dp_op_CI_CI,@function
bluestein_single_back_len1680_dim1_dp_op_CI_CI: ; @bluestein_single_back_len1680_dim1_dp_op_CI_CI
; %bb.0:
	s_load_b128 s[8:11], s[0:1], 0x28
	v_mul_u32_u24_e32 v1, 0x24a, v0
	s_mov_b32 s2, exec_lo
	v_mov_b32_e32 v6, 0
	s_delay_alu instid0(VALU_DEP_2) | instskip(NEXT) | instid1(VALU_DEP_1)
	v_lshrrev_b32_e32 v1, 16, v1
	v_add_nc_u32_e32 v5, ttmp9, v1
	s_wait_kmcnt 0x0
	s_delay_alu instid0(VALU_DEP_1)
	v_cmpx_gt_u64_e64 s[8:9], v[5:6]
	s_cbranch_execz .LBB0_47
; %bb.1:
	s_clause 0x1
	s_load_b128 s[4:7], s[0:1], 0x18
	s_load_b64 s[16:17], s[0:1], 0x0
	v_mul_lo_u16 v1, 0x70, v1
	s_movk_i32 s2, 0xfd28
	s_mov_b32 s3, -1
	v_mov_b32_e32 v6, v5
	s_delay_alu instid0(VALU_DEP_2)
	v_sub_nc_u16 v2, v0, v1
	scratch_store_b64 off, v[6:7], off offset:188 ; 8-byte Folded Spill
	v_and_b32_e32 v25, 0xffff, v2
	s_wait_kmcnt 0x0
	s_load_b128 s[12:15], s[4:5], 0x0
	s_wait_kmcnt 0x0
	v_mad_co_u64_u32 v[0:1], null, s14, v5, 0
	v_mad_co_u64_u32 v[3:4], null, s12, v25, 0
	s_mul_u64 s[4:5], s[12:13], 0x348
	s_mul_u64 s[2:3], s[12:13], s[2:3]
	s_delay_alu instid0(SALU_CYCLE_1) | instskip(NEXT) | instid1(VALU_DEP_2)
	s_lshl_b64 s[2:3], s[2:3], 4
	v_mad_co_u64_u32 v[5:6], null, s15, v5, v[1:2]
	s_delay_alu instid0(VALU_DEP_1) | instskip(NEXT) | instid1(VALU_DEP_3)
	v_dual_mov_b32 v1, v5 :: v_dual_lshlrev_b32 v24, 4, v25
	v_mad_co_u64_u32 v[6:7], null, s13, v25, v[4:5]
	s_clause 0x2
	global_load_b128 v[118:121], v24, s[16:17] offset:13440
	global_load_b128 v[122:125], v24, s[16:17]
	global_load_b128 v[126:129], v24, s[16:17] offset:1792
	v_lshlrev_b64_e32 v[0:1], 4, v[0:1]
	s_clause 0x7
	global_load_b128 v[130:133], v24, s[16:17] offset:15232
	global_load_b128 v[134:137], v24, s[16:17] offset:17024
	;; [unrolled: 1-line block ×8, first 2 shown]
	v_mov_b32_e32 v4, v6
	global_load_b128 v[162:165], v24, s[16:17] offset:22400
	v_add_co_u32 v0, vcc_lo, s10, v0
	v_add_co_ci_u32_e32 v1, vcc_lo, s11, v1, vcc_lo
	v_lshlrev_b64_e32 v[3:4], 4, v[3:4]
	s_lshl_b64 s[10:11], s[4:5], 4
	s_delay_alu instid0(VALU_DEP_1) | instskip(SKIP_1) | instid1(VALU_DEP_2)
	v_add_co_u32 v0, vcc_lo, v0, v3
	s_wait_alu 0xfffd
	v_add_co_ci_u32_e32 v1, vcc_lo, v1, v4, vcc_lo
	s_wait_alu 0xfffe
	s_delay_alu instid0(VALU_DEP_2) | instskip(SKIP_1) | instid1(VALU_DEP_2)
	v_add_co_u32 v7, vcc_lo, v0, s10
	s_wait_alu 0xfffd
	v_add_co_ci_u32_e32 v8, vcc_lo, s11, v1, vcc_lo
	s_delay_alu instid0(VALU_DEP_2) | instskip(SKIP_1) | instid1(VALU_DEP_2)
	v_add_co_u32 v11, vcc_lo, v7, s2
	s_wait_alu 0xfffd
	v_add_co_ci_u32_e32 v12, vcc_lo, s3, v8, vcc_lo
	s_clause 0x1
	global_load_b128 v[3:6], v[0:1], off
	global_load_b128 v[7:10], v[7:8], off
	v_add_co_u32 v15, vcc_lo, v11, s10
	s_wait_alu 0xfffd
	v_add_co_ci_u32_e32 v16, vcc_lo, s11, v12, vcc_lo
	s_delay_alu instid0(VALU_DEP_2) | instskip(SKIP_1) | instid1(VALU_DEP_2)
	v_add_co_u32 v19, vcc_lo, v15, s2
	s_wait_alu 0xfffd
	v_add_co_ci_u32_e32 v20, vcc_lo, s3, v16, vcc_lo
	s_clause 0x1
	global_load_b128 v[11:14], v[11:12], off
	global_load_b128 v[15:18], v[15:16], off
	v_add_co_u32 v0, vcc_lo, v19, s10
	s_wait_alu 0xfffd
	v_add_co_ci_u32_e32 v1, vcc_lo, s11, v20, vcc_lo
	global_load_b128 v[19:22], v[19:20], off
	v_add_co_u32 v26, vcc_lo, v0, s2
	s_wait_alu 0xfffd
	v_add_co_ci_u32_e32 v27, vcc_lo, s3, v1, vcc_lo
	global_load_b128 v[56:59], v[0:1], off
	v_add_co_u32 v28, vcc_lo, v26, s10
	s_wait_alu 0xfffd
	v_add_co_ci_u32_e32 v29, vcc_lo, s11, v27, vcc_lo
	global_load_b128 v[60:63], v[26:27], off
	v_add_co_u32 v0, vcc_lo, v28, s2
	s_wait_alu 0xfffd
	v_add_co_ci_u32_e32 v1, vcc_lo, s3, v29, vcc_lo
	global_load_b128 v[64:67], v[28:29], off
	v_add_co_u32 v26, vcc_lo, v0, s10
	s_wait_alu 0xfffd
	v_add_co_ci_u32_e32 v27, vcc_lo, s11, v1, vcc_lo
	global_load_b128 v[68:71], v[0:1], off
	v_add_co_u32 v28, vcc_lo, v26, s2
	s_wait_alu 0xfffd
	v_add_co_ci_u32_e32 v29, vcc_lo, s3, v27, vcc_lo
	global_load_b128 v[72:75], v[26:27], off
	v_add_co_u32 v30, vcc_lo, v28, s10
	s_wait_alu 0xfffd
	v_add_co_ci_u32_e32 v31, vcc_lo, s11, v29, vcc_lo
	global_load_b128 v[76:79], v[28:29], off
	v_add_co_u32 v26, vcc_lo, v30, s2
	s_wait_alu 0xfffd
	v_add_co_ci_u32_e32 v27, vcc_lo, s3, v31, vcc_lo
	s_delay_alu instid0(VALU_DEP_2) | instskip(SKIP_1) | instid1(VALU_DEP_2)
	v_add_co_u32 v0, vcc_lo, v26, s10
	s_wait_alu 0xfffd
	v_add_co_ci_u32_e32 v1, vcc_lo, s11, v27, vcc_lo
	global_load_b128 v[80:83], v[30:31], off
	global_load_b128 v[166:169], v24, s[16:17] offset:10752
	global_load_b128 v[84:87], v[26:27], off
	global_load_b128 v[170:173], v24, s[16:17] offset:24192
	global_load_b128 v[88:91], v[0:1], off
	v_cmp_gt_u16_e32 vcc_lo, 56, v2
	s_wait_loadcnt 0x1a
	s_clause 0x1
	scratch_store_b128 off, v[122:125], off offset:28
	scratch_store_b128 off, v[118:121], off offset:12
	s_wait_loadcnt 0x19
	scratch_store_b128 off, v[126:129], off offset:44 ; 16-byte Folded Spill
	s_wait_loadcnt 0x18
	scratch_store_b128 off, v[130:133], off offset:60 ; 16-byte Folded Spill
	s_wait_loadcnt 0x16
	s_clause 0x1
	scratch_store_b128 off, v[138:141], off offset:92
	scratch_store_b128 off, v[134:137], off offset:76
	s_wait_loadcnt 0x15
	scratch_store_b128 off, v[142:145], off offset:108 ; 16-byte Folded Spill
	s_wait_loadcnt 0x14
	scratch_store_b128 off, v[146:149], off offset:124 ; 16-byte Folded Spill
	;; [unrolled: 8-line block ×3, first 2 shown]
	s_wait_loadcnt 0xf
	v_mul_f64_e32 v[26:27], v[5:6], v[124:125]
	v_mul_f64_e32 v[28:29], v[3:4], v[124:125]
	s_wait_loadcnt 0xe
	v_mul_f64_e32 v[30:31], v[9:10], v[120:121]
	v_mul_f64_e32 v[32:33], v[7:8], v[120:121]
	s_wait_loadcnt 0xd
	v_mul_f64_e32 v[34:35], v[13:14], v[128:129]
	v_mul_f64_e32 v[36:37], v[11:12], v[128:129]
	s_wait_loadcnt 0xc
	v_mul_f64_e32 v[38:39], v[17:18], v[132:133]
	v_mul_f64_e32 v[40:41], v[15:16], v[132:133]
	s_wait_loadcnt 0xb
	v_mul_f64_e32 v[42:43], v[21:22], v[140:141]
	v_mul_f64_e32 v[44:45], v[19:20], v[140:141]
	s_wait_loadcnt 0xa
	v_mul_f64_e32 v[46:47], v[58:59], v[136:137]
	v_mul_f64_e32 v[48:49], v[56:57], v[136:137]
	s_wait_loadcnt 0x9
	v_mul_f64_e32 v[50:51], v[62:63], v[144:145]
	v_mul_f64_e32 v[52:53], v[60:61], v[144:145]
	s_wait_loadcnt 0x8
	v_mul_f64_e32 v[54:55], v[66:67], v[148:149]
	v_mul_f64_e32 v[92:93], v[64:65], v[148:149]
	s_wait_loadcnt 0x7
	v_mul_f64_e32 v[94:95], v[70:71], v[156:157]
	v_mul_f64_e32 v[96:97], v[68:69], v[156:157]
	v_fma_f64 v[3:4], v[3:4], v[122:123], v[26:27]
	v_fma_f64 v[5:6], v[5:6], v[122:123], -v[28:29]
	v_fma_f64 v[7:8], v[7:8], v[118:119], v[30:31]
	s_wait_loadcnt 0x6
	v_mul_f64_e32 v[98:99], v[74:75], v[152:153]
	v_mul_f64_e32 v[100:101], v[72:73], v[152:153]
	v_fma_f64 v[9:10], v[9:10], v[118:119], -v[32:33]
	v_add_co_u32 v26, s12, s16, v24
	s_wait_loadcnt 0x5
	v_mul_f64_e32 v[102:103], v[78:79], v[160:161]
	v_mul_f64_e32 v[104:105], v[76:77], v[160:161]
	v_fma_f64 v[11:12], v[11:12], v[126:127], v[34:35]
	v_fma_f64 v[13:14], v[13:14], v[126:127], -v[36:37]
	v_fma_f64 v[15:16], v[15:16], v[130:131], v[38:39]
	v_fma_f64 v[17:18], v[17:18], v[130:131], -v[40:41]
	s_wait_loadcnt 0x4
	v_mul_f64_e32 v[106:107], v[82:83], v[164:165]
	v_mul_f64_e32 v[108:109], v[80:81], v[164:165]
	s_wait_loadcnt 0x2
	v_mul_f64_e32 v[110:111], v[86:87], v[168:169]
	v_mul_f64_e32 v[112:113], v[84:85], v[168:169]
	;; [unrolled: 3-line block ×3, first 2 shown]
	v_fma_f64 v[19:20], v[19:20], v[138:139], v[42:43]
	v_fma_f64 v[56:57], v[56:57], v[134:135], v[46:47]
	v_fma_f64 v[58:59], v[58:59], v[134:135], -v[48:49]
	v_fma_f64 v[21:22], v[21:22], v[138:139], -v[44:45]
	s_clause 0x1
	scratch_store_b128 off, v[166:169], off offset:212
	scratch_store_b128 off, v[170:173], off offset:228
	v_fma_f64 v[60:61], v[60:61], v[142:143], v[50:51]
	v_fma_f64 v[62:63], v[62:63], v[142:143], -v[52:53]
	s_load_b64 s[8:9], s[0:1], 0x38
	s_load_b128 s[4:7], s[6:7], 0x0
	v_add_co_ci_u32_e64 v27, null, s17, 0, s12
	v_fma_f64 v[64:65], v[64:65], v[146:147], v[54:55]
	v_fma_f64 v[66:67], v[66:67], v[146:147], -v[92:93]
	scratch_store_b64 off, v[26:27], off offset:4 ; 8-byte Folded Spill
	v_fma_f64 v[68:69], v[68:69], v[154:155], v[94:95]
	v_fma_f64 v[70:71], v[70:71], v[154:155], -v[96:97]
	v_fma_f64 v[72:73], v[72:73], v[150:151], v[98:99]
	v_fma_f64 v[74:75], v[74:75], v[150:151], -v[100:101]
	v_fma_f64 v[76:77], v[76:77], v[158:159], v[102:103]
	v_fma_f64 v[78:79], v[78:79], v[158:159], -v[104:105]
	ds_store_b128 v24, v[3:6]
	ds_store_b128 v24, v[11:14] offset:1792
	ds_store_b128 v24, v[15:18] offset:15232
	;; [unrolled: 1-line block ×9, first 2 shown]
	v_fma_f64 v[84:85], v[84:85], v[166:167], v[110:111]
	v_fma_f64 v[86:87], v[86:87], v[166:167], -v[112:113]
	v_fma_f64 v[80:81], v[80:81], v[162:163], v[106:107]
	v_fma_f64 v[82:83], v[82:83], v[162:163], -v[108:109]
	;; [unrolled: 2-line block ×3, first 2 shown]
	ds_store_b128 v24, v[7:10] offset:13440
	ds_store_b128 v24, v[84:87] offset:10752
	;; [unrolled: 1-line block ×4, first 2 shown]
	s_and_saveexec_b32 s12, vcc_lo
	s_cbranch_execz .LBB0_3
; %bb.2:
	v_add_co_u32 v0, s2, v0, s2
	s_wait_alu 0xf1ff
	v_add_co_ci_u32_e64 v1, s2, s3, v1, s2
	s_delay_alu instid0(VALU_DEP_2) | instskip(SKIP_1) | instid1(VALU_DEP_2)
	v_add_co_u32 v12, s2, v0, s10
	s_wait_alu 0xf1ff
	v_add_co_ci_u32_e64 v13, s2, s11, v1, s2
	global_load_b128 v[0:3], v[0:1], off
	scratch_load_b64 v[8:9], off, off offset:4 ; 8-byte Folded Reload
	s_wait_loadcnt 0x0
	s_clause 0x1
	global_load_b128 v[4:7], v[8:9], off offset:12544
	global_load_b128 v[8:11], v[8:9], off offset:25984
	global_load_b128 v[12:15], v[12:13], off
	s_wait_loadcnt 0x2
	v_mul_f64_e32 v[16:17], v[2:3], v[6:7]
	v_mul_f64_e32 v[6:7], v[0:1], v[6:7]
	s_wait_loadcnt 0x0
	v_mul_f64_e32 v[18:19], v[14:15], v[10:11]
	v_mul_f64_e32 v[10:11], v[12:13], v[10:11]
	s_delay_alu instid0(VALU_DEP_4) | instskip(NEXT) | instid1(VALU_DEP_4)
	v_fma_f64 v[0:1], v[0:1], v[4:5], v[16:17]
	v_fma_f64 v[2:3], v[2:3], v[4:5], -v[6:7]
	s_delay_alu instid0(VALU_DEP_4) | instskip(NEXT) | instid1(VALU_DEP_4)
	v_fma_f64 v[4:5], v[12:13], v[8:9], v[18:19]
	v_fma_f64 v[6:7], v[14:15], v[8:9], -v[10:11]
	ds_store_b128 v24, v[0:3] offset:12544
	ds_store_b128 v24, v[4:7] offset:25984
.LBB0_3:
	s_wait_alu 0xfffe
	s_or_b32 exec_lo, exec_lo, s12
	global_wb scope:SCOPE_SE
	s_wait_storecnt_dscnt 0x0
	s_wait_kmcnt 0x0
	s_barrier_signal -1
	s_barrier_wait -1
	global_inv scope:SCOPE_SE
	ds_load_b128 v[0:3], v24
	ds_load_b128 v[4:7], v24 offset:1792
	ds_load_b128 v[92:95], v24 offset:15232
	;; [unrolled: 1-line block ×13, first 2 shown]
                                        ; implicit-def: $vgpr72_vgpr73
                                        ; implicit-def: $vgpr60_vgpr61
	s_and_saveexec_b32 s2, vcc_lo
	s_cbranch_execz .LBB0_5
; %bb.4:
	ds_load_b128 v[72:75], v24 offset:12544
	ds_load_b128 v[60:63], v24 offset:25984
.LBB0_5:
	s_wait_alu 0xfffe
	s_or_b32 exec_lo, exec_lo, s2
	s_wait_dscnt 0x3
	v_add_f64_e64 v[96:97], v[0:1], -v[20:21]
	v_add_f64_e64 v[98:99], v[2:3], -v[22:23]
	s_wait_dscnt 0x1
	v_add_f64_e64 v[76:77], v[56:57], -v[76:77]
	v_add_f64_e64 v[78:79], v[58:59], -v[78:79]
	;; [unrolled: 3-line block ×3, first 2 shown]
	v_add_f64_e64 v[88:89], v[12:13], -v[88:89]
	v_add_f64_e64 v[90:91], v[14:15], -v[90:91]
	;; [unrolled: 1-line block ×10, first 2 shown]
	s_load_b64 s[2:3], s[0:1], 0x8
	v_lshlrev_b32_e32 v22, 1, v25
	v_add_co_u32 v104, null, 0x310, v25
	v_add_co_u32 v203, s0, 0x70, v25
	s_wait_alu 0xf1ff
	v_add_co_ci_u32_e64 v20, null, 0, 0, s0
	v_add_co_u32 v202, null, 0xe0, v25
	v_add_co_u32 v21, null, 0x150, v25
	;; [unrolled: 1-line block ×3, first 2 shown]
	v_add_nc_u32_e32 v113, 0x460, v22
	v_add_nc_u32_e32 v114, 0x540, v22
	v_lshlrev_b32_e32 v29, 5, v104
	global_wb scope:SCOPE_SE
	s_wait_kmcnt 0x0
	s_barrier_signal -1
	s_barrier_wait -1
	global_inv scope:SCOPE_SE
	v_lshlrev_b32_e32 v33, 5, v25
	v_fma_f64 v[0:1], v[0:1], 2.0, -v[96:97]
	v_fma_f64 v[2:3], v[2:3], 2.0, -v[98:99]
	;; [unrolled: 1-line block ×16, first 2 shown]
	v_lshlrev_b32_e32 v23, 1, v203
	v_lshlrev_b32_e32 v32, 5, v203
	;; [unrolled: 1-line block ×8, first 2 shown]
	scratch_store_b32 off, v29, off offset:376 ; 4-byte Folded Spill
	v_lshlrev_b32_e32 v35, 4, v113
	v_lshlrev_b32_e32 v29, 4, v114
	;; [unrolled: 1-line block ×3, first 2 shown]
	ds_store_b128 v33, v[0:3]
	ds_store_b128 v33, v[96:99] offset:16
	ds_store_b128 v32, v[4:7]
	scratch_store_b32 off, v32, off offset:256 ; 4-byte Folded Spill
	ds_store_b128 v32, v[92:95] offset:16
	ds_store_b128 v31, v[12:15]
	scratch_store_b32 off, v31, off offset:252 ; 4-byte Folded Spill
	;; [unrolled: 3-line block ×4, first 2 shown]
	ds_store_b128 v34, v[80:83] offset:16
	ds_store_b128 v28, v[100:103] offset:17920
	scratch_store_b32 off, v35, off offset:272 ; 4-byte Folded Spill
	ds_store_b128 v35, v[76:79] offset:16
	ds_store_b128 v28, v[68:71] offset:21504
	scratch_store_b32 off, v29, off offset:260 ; 4-byte Folded Spill
	ds_store_b128 v29, v[16:19] offset:16
	s_and_saveexec_b32 s0, vcc_lo
	s_cbranch_execz .LBB0_7
; %bb.6:
	v_lshlrev_b32_e32 v0, 5, v104
	ds_store_b128 v0, v[56:59]
	ds_store_b128 v0, v[60:63] offset:16
.LBB0_7:
	s_wait_alu 0xfffe
	s_or_b32 exec_lo, exec_lo, s0
	global_wb scope:SCOPE_SE
	s_wait_storecnt_dscnt 0x0
	s_barrier_signal -1
	s_barrier_wait -1
	global_inv scope:SCOPE_SE
	ds_load_b128 v[64:67], v24
	ds_load_b128 v[68:71], v24 offset:1792
	ds_load_b128 v[0:3], v24 offset:15232
	;; [unrolled: 1-line block ×13, first 2 shown]
	s_and_saveexec_b32 s0, vcc_lo
	s_cbranch_execz .LBB0_9
; %bb.8:
	ds_load_b128 v[56:59], v24 offset:12544
	ds_load_b128 v[60:63], v24 offset:25984
.LBB0_9:
	s_wait_alu 0xfffe
	s_or_b32 exec_lo, exec_lo, s0
	v_and_b32_e32 v109, 1, v25
	s_delay_alu instid0(VALU_DEP_1)
	v_lshlrev_b32_e32 v28, 4, v109
	global_load_b128 v[88:91], v28, s[2:3]
	s_wait_loadcnt_dscnt 0x3
	v_mul_f64_e32 v[28:29], v[102:103], v[90:91]
	v_mul_f64_e32 v[30:31], v[100:101], v[90:91]
	s_wait_dscnt 0x0
	v_mul_f64_e32 v[105:106], v[62:63], v[90:91]
	v_mul_f64_e32 v[107:108], v[60:61], v[90:91]
	v_mul_f64_e32 v[32:33], v[2:3], v[90:91]
	v_mul_f64_e32 v[34:35], v[0:1], v[90:91]
	v_mul_f64_e32 v[36:37], v[6:7], v[90:91]
	v_mul_f64_e32 v[38:39], v[4:5], v[90:91]
	v_mul_f64_e32 v[40:41], v[10:11], v[90:91]
	v_mul_f64_e32 v[42:43], v[8:9], v[90:91]
	v_mul_f64_e32 v[44:45], v[14:15], v[90:91]
	v_mul_f64_e32 v[46:47], v[12:13], v[90:91]
	v_mul_f64_e32 v[48:49], v[98:99], v[90:91]
	v_mul_f64_e32 v[50:51], v[96:97], v[90:91]
	v_mul_f64_e32 v[52:53], v[18:19], v[90:91]
	v_mul_f64_e32 v[54:55], v[16:17], v[90:91]
	v_fma_f64 v[28:29], v[100:101], v[88:89], -v[28:29]
	v_fma_f64 v[30:31], v[102:103], v[88:89], v[30:31]
	v_fma_f64 v[60:61], v[60:61], v[88:89], -v[105:106]
	v_fma_f64 v[62:63], v[62:63], v[88:89], v[107:108]
	;; [unrolled: 2-line block ×8, first 2 shown]
	v_add_f64_e64 v[0:1], v[64:65], -v[28:29]
	v_add_f64_e64 v[2:3], v[66:67], -v[30:31]
	;; [unrolled: 1-line block ×16, first 2 shown]
	v_lshlrev_b32_e32 v28, 1, v104
	v_and_or_b32 v29, 0x1fc, v23, v109
	v_and_or_b32 v30, 0x3fc, v26, v109
	;; [unrolled: 1-line block ×4, first 2 shown]
	scratch_store_b32 off, v28, off         ; 4-byte Folded Spill
	v_and_or_b32 v28, 0xfc, v22, v109
	v_and_or_b32 v33, 0x5fc, v113, v109
	;; [unrolled: 1-line block ×3, first 2 shown]
	v_lshlrev_b32_e32 v36, 4, v29
	v_lshlrev_b32_e32 v35, 4, v30
	;; [unrolled: 1-line block ×7, first 2 shown]
	global_wb scope:SCOPE_SE
	s_wait_storecnt 0x0
	s_barrier_signal -1
	s_barrier_wait -1
	global_inv scope:SCOPE_SE
	scratch_store_b32 off, v37, off offset:364 ; 4-byte Folded Spill
	v_fma_f64 v[64:65], v[64:65], 2.0, -v[0:1]
	v_fma_f64 v[66:67], v[66:67], 2.0, -v[2:3]
	;; [unrolled: 1-line block ×16, first 2 shown]
	ds_store_b128 v37, v[64:67]
	ds_store_b128 v37, v[0:3] offset:32
	ds_store_b128 v36, v[68:71]
	scratch_store_b32 off, v36, off offset:352 ; 4-byte Folded Spill
	ds_store_b128 v36, v[4:7] offset:32
	ds_store_b128 v35, v[76:79]
	scratch_store_b32 off, v35, off offset:336 ; 4-byte Folded Spill
	;; [unrolled: 3-line block ×6, first 2 shown]
	ds_store_b128 v28, v[100:103] offset:32
	s_and_saveexec_b32 s0, vcc_lo
	s_cbranch_execz .LBB0_11
; %bb.10:
	scratch_load_b32 v0, off, off           ; 4-byte Folded Reload
	v_and_b32_e32 v1, 1, v25
	s_wait_loadcnt 0x0
	s_delay_alu instid0(VALU_DEP_1) | instskip(NEXT) | instid1(VALU_DEP_1)
	v_and_or_b32 v0, 0x6fc, v0, v1
	v_lshlrev_b32_e32 v0, 4, v0
	ds_store_b128 v0, v[56:59]
	ds_store_b128 v0, v[60:63] offset:32
.LBB0_11:
	s_wait_alu 0xfffe
	s_or_b32 exec_lo, exec_lo, s0
	global_wb scope:SCOPE_SE
	s_wait_storecnt_dscnt 0x0
	s_barrier_signal -1
	s_barrier_wait -1
	global_inv scope:SCOPE_SE
	ds_load_b128 v[64:67], v24
	ds_load_b128 v[68:71], v24 offset:1792
	ds_load_b128 v[0:3], v24 offset:15232
	;; [unrolled: 1-line block ×13, first 2 shown]
	s_and_saveexec_b32 s0, vcc_lo
	s_cbranch_execz .LBB0_13
; %bb.12:
	ds_load_b128 v[56:59], v24 offset:12544
	ds_load_b128 v[60:63], v24 offset:25984
.LBB0_13:
	s_wait_alu 0xfffe
	s_or_b32 exec_lo, exec_lo, s0
	v_and_b32_e32 v115, 3, v25
	s_delay_alu instid0(VALU_DEP_1)
	v_lshlrev_b32_e32 v28, 4, v115
	global_load_b128 v[92:95], v28, s[2:3] offset:32
	global_wb scope:SCOPE_SE
	s_wait_loadcnt_dscnt 0x0
	s_barrier_signal -1
	s_barrier_wait -1
	global_inv scope:SCOPE_SE
	v_mul_f64_e32 v[28:29], v[106:107], v[94:95]
	v_mul_f64_e32 v[30:31], v[104:105], v[94:95]
	;; [unrolled: 1-line block ×16, first 2 shown]
	v_fma_f64 v[28:29], v[104:105], v[92:93], -v[28:29]
	v_fma_f64 v[30:31], v[106:107], v[92:93], v[30:31]
	v_fma_f64 v[60:61], v[60:61], v[92:93], -v[108:109]
	v_fma_f64 v[62:63], v[62:63], v[92:93], v[110:111]
	;; [unrolled: 2-line block ×8, first 2 shown]
	v_add_f64_e64 v[0:1], v[64:65], -v[28:29]
	v_add_f64_e64 v[2:3], v[66:67], -v[30:31]
	v_add_f64_e64 v[60:61], v[56:57], -v[60:61]
	v_add_f64_e64 v[62:63], v[58:59], -v[62:63]
	v_add_f64_e64 v[4:5], v[68:69], -v[32:33]
	v_add_f64_e64 v[6:7], v[70:71], -v[34:35]
	v_add_f64_e64 v[8:9], v[76:77], -v[36:37]
	v_add_f64_e64 v[10:11], v[78:79], -v[38:39]
	v_add_f64_e64 v[12:13], v[72:73], -v[40:41]
	v_add_f64_e64 v[14:15], v[74:75], -v[42:43]
	v_add_f64_e64 v[16:17], v[84:85], -v[44:45]
	v_add_f64_e64 v[18:19], v[86:87], -v[46:47]
	v_add_f64_e64 v[100:101], v[80:81], -v[48:49]
	v_add_f64_e64 v[102:103], v[82:83], -v[50:51]
	v_add_f64_e64 v[104:105], v[96:97], -v[52:53]
	v_add_f64_e64 v[106:107], v[98:99], -v[54:55]
	v_and_or_b32 v28, 0xf8, v22, v115
	v_and_or_b32 v29, 0x1f8, v23, v115
	;; [unrolled: 1-line block ×7, first 2 shown]
	v_lshlrev_b32_e32 v37, 4, v28
	v_lshlrev_b32_e32 v36, 4, v29
	;; [unrolled: 1-line block ×7, first 2 shown]
	scratch_store_b32 off, v37, off offset:356 ; 4-byte Folded Spill
	v_fma_f64 v[64:65], v[64:65], 2.0, -v[0:1]
	v_fma_f64 v[66:67], v[66:67], 2.0, -v[2:3]
	;; [unrolled: 1-line block ×16, first 2 shown]
	ds_store_b128 v37, v[64:67]
	ds_store_b128 v37, v[0:3] offset:64
	ds_store_b128 v36, v[68:71]
	scratch_store_b32 off, v36, off offset:344 ; 4-byte Folded Spill
	ds_store_b128 v36, v[4:7] offset:64
	ds_store_b128 v35, v[76:79]
	scratch_store_b32 off, v35, off offset:328 ; 4-byte Folded Spill
	;; [unrolled: 3-line block ×6, first 2 shown]
	ds_store_b128 v28, v[104:107] offset:64
	s_and_saveexec_b32 s0, vcc_lo
	s_cbranch_execz .LBB0_15
; %bb.14:
	scratch_load_b32 v0, off, off           ; 4-byte Folded Reload
	v_and_b32_e32 v1, 3, v25
	s_wait_loadcnt 0x0
	s_delay_alu instid0(VALU_DEP_1) | instskip(NEXT) | instid1(VALU_DEP_1)
	v_and_or_b32 v0, 0x6f8, v0, v1
	v_lshlrev_b32_e32 v0, 4, v0
	ds_store_b128 v0, v[56:59]
	ds_store_b128 v0, v[60:63] offset:64
.LBB0_15:
	s_wait_alu 0xfffe
	s_or_b32 exec_lo, exec_lo, s0
	global_wb scope:SCOPE_SE
	s_wait_storecnt_dscnt 0x0
	s_barrier_signal -1
	s_barrier_wait -1
	global_inv scope:SCOPE_SE
	ds_load_b128 v[68:71], v24
	ds_load_b128 v[72:75], v24 offset:1792
	ds_load_b128 v[4:7], v24 offset:15232
	;; [unrolled: 1-line block ×13, first 2 shown]
	s_and_saveexec_b32 s0, vcc_lo
	s_cbranch_execz .LBB0_17
; %bb.16:
	ds_load_b128 v[56:59], v24 offset:12544
	ds_load_b128 v[60:63], v24 offset:25984
.LBB0_17:
	s_wait_alu 0xfffe
	s_or_b32 exec_lo, exec_lo, s0
	v_and_b32_e32 v119, 7, v25
	s_delay_alu instid0(VALU_DEP_1)
	v_lshlrev_b32_e32 v28, 4, v119
	v_and_or_b32 v22, 0xf0, v22, v119
	v_and_or_b32 v23, 0x1f0, v23, v119
	;; [unrolled: 1-line block ×4, first 2 shown]
	global_load_b128 v[80:83], v28, s[2:3] offset:96
	global_wb scope:SCOPE_SE
	s_wait_loadcnt_dscnt 0x0
	s_barrier_signal -1
	s_barrier_wait -1
	v_lshlrev_b32_e32 v27, 4, v27
	global_inv scope:SCOPE_SE
	v_mul_f64_e32 v[28:29], v[110:111], v[82:83]
	v_mul_f64_e32 v[30:31], v[108:109], v[82:83]
	v_mul_f64_e32 v[32:33], v[6:7], v[82:83]
	v_mul_f64_e32 v[34:35], v[4:5], v[82:83]
	v_mul_f64_e32 v[36:37], v[10:11], v[82:83]
	v_mul_f64_e32 v[38:39], v[8:9], v[82:83]
	v_mul_f64_e32 v[40:41], v[14:15], v[82:83]
	v_mul_f64_e32 v[42:43], v[12:13], v[82:83]
	v_mul_f64_e32 v[44:45], v[18:19], v[82:83]
	v_mul_f64_e32 v[46:47], v[16:17], v[82:83]
	v_mul_f64_e32 v[48:49], v[106:107], v[82:83]
	v_mul_f64_e32 v[50:51], v[104:105], v[82:83]
	v_mul_f64_e32 v[52:53], v[102:103], v[82:83]
	v_mul_f64_e32 v[54:55], v[100:101], v[82:83]
	v_mul_f64_e32 v[115:116], v[62:63], v[82:83]
	v_mul_f64_e32 v[117:118], v[60:61], v[82:83]
	v_fma_f64 v[28:29], v[108:109], v[80:81], -v[28:29]
	v_fma_f64 v[30:31], v[110:111], v[80:81], v[30:31]
	v_fma_f64 v[32:33], v[4:5], v[80:81], -v[32:33]
	v_fma_f64 v[34:35], v[6:7], v[80:81], v[34:35]
	;; [unrolled: 2-line block ×7, first 2 shown]
	v_add_f64_e64 v[4:5], v[68:69], -v[28:29]
	v_add_f64_e64 v[6:7], v[70:71], -v[30:31]
	v_fma_f64 v[28:29], v[60:61], v[80:81], -v[115:116]
	v_fma_f64 v[30:31], v[62:63], v[80:81], v[117:118]
	v_add_f64_e64 v[8:9], v[72:73], -v[32:33]
	v_add_f64_e64 v[10:11], v[74:75], -v[34:35]
	;; [unrolled: 1-line block ×12, first 2 shown]
	v_lshlrev_b32_e32 v33, 4, v22
	v_lshlrev_b32_e32 v32, 4, v23
	scratch_store_b32 off, v33, off offset:360 ; 4-byte Folded Spill
	v_fma_f64 v[68:69], v[68:69], 2.0, -v[4:5]
	v_fma_f64 v[70:71], v[70:71], 2.0, -v[6:7]
	v_add_f64_e64 v[60:61], v[56:57], -v[28:29]
	v_add_f64_e64 v[62:63], v[58:59], -v[30:31]
	v_fma_f64 v[72:73], v[72:73], 2.0, -v[8:9]
	v_fma_f64 v[74:75], v[74:75], 2.0, -v[10:11]
	;; [unrolled: 1-line block ×12, first 2 shown]
	v_and_or_b32 v28, 0x7f0, v112, v119
	v_and_or_b32 v29, 0x5f0, v113, v119
	;; [unrolled: 1-line block ×3, first 2 shown]
	v_lshlrev_b32_e32 v31, 4, v26
	s_delay_alu instid0(VALU_DEP_4) | instskip(NEXT) | instid1(VALU_DEP_4)
	v_lshlrev_b32_e32 v26, 4, v28
	v_lshlrev_b32_e32 v23, 4, v29
	s_delay_alu instid0(VALU_DEP_4)
	v_lshlrev_b32_e32 v22, 4, v30
	ds_store_b128 v33, v[68:71]
	ds_store_b128 v33, v[4:7] offset:128
	ds_store_b128 v32, v[72:75]
	scratch_store_b32 off, v32, off offset:348 ; 4-byte Folded Spill
	ds_store_b128 v32, v[8:11] offset:128
	ds_store_b128 v31, v[0:3]
	scratch_store_b32 off, v31, off offset:332 ; 4-byte Folded Spill
	ds_store_b128 v31, v[12:15] offset:128
	ds_store_b128 v27, v[76:79]
	scratch_store_b32 off, v27, off offset:320 ; 4-byte Folded Spill
	ds_store_b128 v27, v[16:19] offset:128
	ds_store_b128 v26, v[96:99]
	scratch_store_b32 off, v26, off offset:308 ; 4-byte Folded Spill
	ds_store_b128 v26, v[100:103] offset:128
	ds_store_b128 v23, v[84:87]
	scratch_store_b32 off, v23, off offset:296 ; 4-byte Folded Spill
	ds_store_b128 v23, v[104:107] offset:128
	ds_store_b128 v22, v[64:67]
	scratch_store_b32 off, v22, off offset:280 ; 4-byte Folded Spill
	ds_store_b128 v22, v[108:111] offset:128
	s_and_saveexec_b32 s0, vcc_lo
	s_cbranch_execz .LBB0_19
; %bb.18:
	scratch_load_b32 v4, off, off           ; 4-byte Folded Reload
	v_fma_f64 v[2:3], v[58:59], 2.0, -v[62:63]
	v_fma_f64 v[0:1], v[56:57], 2.0, -v[60:61]
	v_and_b32_e32 v5, 7, v25
	s_wait_loadcnt 0x0
	s_delay_alu instid0(VALU_DEP_1) | instskip(NEXT) | instid1(VALU_DEP_1)
	v_and_or_b32 v4, 0x6f0, v4, v5
	v_lshlrev_b32_e32 v4, 4, v4
	ds_store_b128 v4, v[0:3]
	ds_store_b128 v4, v[60:63] offset:128
.LBB0_19:
	s_wait_alu 0xfffe
	s_or_b32 exec_lo, exec_lo, s0
	v_and_b32_e32 v152, 15, v25
	global_wb scope:SCOPE_SE
	s_wait_storecnt_dscnt 0x0
	s_barrier_signal -1
	s_barrier_wait -1
	global_inv scope:SCOPE_SE
	v_lshlrev_b32_e32 v0, 5, v152
	s_mov_b32 s0, 0xe8584caa
	s_mov_b32 s1, 0x3febb67a
	;; [unrolled: 1-line block ×3, first 2 shown]
	s_wait_alu 0xfffe
	s_mov_b32 s10, s0
	s_clause 0x1
	global_load_b128 v[96:99], v0, s[2:3] offset:224
	global_load_b128 v[84:87], v0, s[2:3] offset:240
	ds_load_b128 v[0:3], v24 offset:8960
	ds_load_b128 v[4:7], v24 offset:17920
	;; [unrolled: 1-line block ×11, first 2 shown]
	v_lshrrev_b32_e32 v153, 4, v25
	v_lshrrev_b32_e32 v21, 4, v21
	;; [unrolled: 1-line block ×3, first 2 shown]
                                        ; implicit-def: $vgpr160_vgpr161
                                        ; implicit-def: $vgpr164_vgpr165
	s_delay_alu instid0(VALU_DEP_2) | instskip(NEXT) | instid1(VALU_DEP_2)
	v_mul_u32_u24_e32 v21, 48, v21
	v_mul_u32_u24_e32 v20, 48, v20
	s_delay_alu instid0(VALU_DEP_2) | instskip(NEXT) | instid1(VALU_DEP_2)
	v_or_b32_e32 v21, v21, v152
	v_or_b32_e32 v20, v20, v152
	s_delay_alu instid0(VALU_DEP_2) | instskip(NEXT) | instid1(VALU_DEP_2)
	v_lshlrev_b32_e32 v21, 4, v21
	v_lshlrev_b32_e32 v20, 4, v20
	s_wait_loadcnt_dscnt 0x10a
	v_mul_f64_e32 v[22:23], v[2:3], v[98:99]
	v_mul_f64_e32 v[26:27], v[0:1], v[98:99]
	s_wait_loadcnt_dscnt 0x9
	v_mul_f64_e32 v[28:29], v[6:7], v[86:87]
	v_mul_f64_e32 v[30:31], v[4:5], v[86:87]
	s_wait_dscnt 0x8
	v_mul_f64_e32 v[32:33], v[10:11], v[98:99]
	v_mul_f64_e32 v[34:35], v[8:9], v[98:99]
	s_wait_dscnt 0x7
	;; [unrolled: 3-line block ×5, first 2 shown]
	v_mul_f64_e32 v[48:49], v[66:67], v[98:99]
	s_wait_dscnt 0x3
	v_mul_f64_e32 v[50:51], v[70:71], v[86:87]
	v_mul_f64_e32 v[52:53], v[64:65], v[98:99]
	;; [unrolled: 1-line block ×3, first 2 shown]
	s_wait_dscnt 0x2
	v_mul_f64_e32 v[104:105], v[74:75], v[98:99]
	s_wait_dscnt 0x1
	v_mul_f64_e32 v[106:107], v[78:79], v[86:87]
	v_mul_f64_e32 v[108:109], v[72:73], v[98:99]
	;; [unrolled: 1-line block ×3, first 2 shown]
	v_fma_f64 v[22:23], v[0:1], v[96:97], -v[22:23]
	v_fma_f64 v[26:27], v[2:3], v[96:97], v[26:27]
	v_fma_f64 v[28:29], v[4:5], v[84:85], -v[28:29]
	v_fma_f64 v[30:31], v[6:7], v[84:85], v[30:31]
	;; [unrolled: 2-line block ×6, first 2 shown]
	v_fma_f64 v[44:45], v[64:65], v[96:97], -v[48:49]
	v_fma_f64 v[46:47], v[68:69], v[84:85], -v[50:51]
	v_fma_f64 v[48:49], v[66:67], v[96:97], v[52:53]
	v_fma_f64 v[50:51], v[70:71], v[84:85], v[54:55]
	v_fma_f64 v[52:53], v[72:73], v[96:97], -v[104:105]
	v_fma_f64 v[54:55], v[76:77], v[84:85], -v[106:107]
	v_fma_f64 v[56:57], v[74:75], v[96:97], v[108:109]
	v_fma_f64 v[58:59], v[78:79], v[84:85], v[110:111]
	ds_load_b128 v[0:3], v24
	ds_load_b128 v[4:7], v24 offset:1792
	ds_load_b128 v[8:11], v24 offset:3584
	;; [unrolled: 1-line block ×3, first 2 shown]
	global_wb scope:SCOPE_SE
	s_wait_dscnt 0x0
	s_barrier_signal -1
	s_barrier_wait -1
	global_inv scope:SCOPE_SE
	v_add_f64_e32 v[108:109], v[0:1], v[22:23]
	v_add_f64_e32 v[64:65], v[22:23], v[28:29]
	;; [unrolled: 1-line block ×3, first 2 shown]
	v_add_f64_e64 v[110:111], v[26:27], -v[30:31]
	v_add_f64_e32 v[68:69], v[32:33], v[36:37]
	v_add_f64_e32 v[70:71], v[34:35], v[38:39]
	;; [unrolled: 1-line block ×15, first 2 shown]
	v_add_f64_e64 v[22:23], v[22:23], -v[28:29]
	v_add_f64_e64 v[34:35], v[34:35], -v[38:39]
	;; [unrolled: 1-line block ×9, first 2 shown]
	v_add_f64_e32 v[116:117], v[8:9], v[16:17]
	v_add_f64_e32 v[118:119], v[10:11], v[18:19]
	v_fma_f64 v[64:65], v[64:65], -0.5, v[0:1]
	v_fma_f64 v[66:67], v[66:67], -0.5, v[2:3]
	v_add_f64_e32 v[0:1], v[108:109], v[28:29]
	v_fma_f64 v[128:129], v[68:69], -0.5, v[4:5]
	v_fma_f64 v[130:131], v[70:71], -0.5, v[6:7]
	v_add_f64_e32 v[2:3], v[26:27], v[30:31]
	v_add_f64_e32 v[4:5], v[112:113], v[36:37]
	v_fma_f64 v[134:135], v[72:73], -0.5, v[8:9]
	v_fma_f64 v[138:139], v[74:75], -0.5, v[10:11]
	v_add_f64_e32 v[6:7], v[114:115], v[38:39]
	v_fma_f64 v[140:141], v[76:77], -0.5, v[12:13]
	v_add_f64_e32 v[12:13], v[120:121], v[46:47]
	;; [unrolled: 2-line block ×5, first 2 shown]
	v_mul_u32_u24_e32 v26, 48, v153
	s_delay_alu instid0(VALU_DEP_1) | instskip(SKIP_2) | instid1(VALU_DEP_3)
	v_or_b32_e32 v26, v26, v152
	v_add_f64_e32 v[8:9], v[116:117], v[40:41]
	v_add_f64_e32 v[10:11], v[118:119], v[42:43]
	v_lshlrev_b32_e32 v27, 4, v26
	v_fma_f64 v[56:57], v[110:111], s[0:1], v[64:65]
	s_wait_alu 0xfffe
	v_fma_f64 v[64:65], v[110:111], s[10:11], v[64:65]
	v_fma_f64 v[58:59], v[22:23], s[10:11], v[66:67]
	v_fma_f64 v[66:67], v[22:23], s[0:1], v[66:67]
	v_fma_f64 v[72:73], v[34:35], s[10:11], v[128:129]
	v_fma_f64 v[74:75], v[32:33], s[0:1], v[130:131]
	v_fma_f64 v[68:69], v[34:35], s[0:1], v[128:129]
	v_fma_f64 v[100:101], v[132:133], s[10:11], v[134:135]
	v_fma_f64 v[102:103], v[136:137], s[0:1], v[138:139]
	v_fma_f64 v[70:71], v[32:33], s[10:11], v[130:131]
	v_fma_f64 v[108:109], v[48:49], s[10:11], v[140:141]
	v_fma_f64 v[76:77], v[132:133], s[0:1], v[134:135]
	v_fma_f64 v[110:111], v[44:45], s[0:1], v[142:143]
	v_fma_f64 v[78:79], v[136:137], s[10:11], v[138:139]
	v_fma_f64 v[148:149], v[144:145], s[10:11], v[146:147]
	v_fma_f64 v[104:105], v[48:49], s[0:1], v[140:141]
	v_fma_f64 v[114:115], v[52:53], s[10:11], v[150:151]
	v_fma_f64 v[150:151], v[52:53], s[0:1], v[150:151]
	v_fma_f64 v[106:107], v[44:45], s[10:11], v[142:143]
	v_fma_f64 v[112:113], v[144:145], s[0:1], v[146:147]
	v_lshrrev_b32_e32 v22, 4, v203
	v_lshrrev_b32_e32 v23, 4, v202
	v_cmp_gt_u16_e64 s0, 16, v25
	ds_store_b128 v27, v[0:3]
	ds_store_b128 v27, v[56:59] offset:256
	v_mul_u32_u24_e32 v22, 48, v22
	v_mul_u32_u24_e32 v23, 48, v23
	scratch_store_b32 off, v27, off offset:368 ; 4-byte Folded Spill
	v_or_b32_e32 v22, v22, v152
	v_or_b32_e32 v23, v23, v152
	s_delay_alu instid0(VALU_DEP_2) | instskip(NEXT) | instid1(VALU_DEP_2)
	v_lshlrev_b32_e32 v26, 4, v22
	v_lshlrev_b32_e32 v22, 4, v23
	ds_store_b128 v27, v[64:67] offset:512
	ds_store_b128 v26, v[4:7]
	ds_store_b128 v26, v[68:71] offset:256
	scratch_store_b32 off, v26, off offset:340 ; 4-byte Folded Spill
	ds_store_b128 v26, v[72:75] offset:512
	ds_store_b128 v22, v[8:11]
	ds_store_b128 v22, v[76:79] offset:256
	scratch_store_b32 off, v22, off offset:292 ; 4-byte Folded Spill
	;; [unrolled: 4-line block ×4, first 2 shown]
	ds_store_b128 v20, v[148:151] offset:512
	global_wb scope:SCOPE_SE
	s_wait_storecnt_dscnt 0x0
	s_barrier_signal -1
	s_barrier_wait -1
	global_inv scope:SCOPE_SE
	ds_load_b128 v[156:159], v24
	ds_load_b128 v[152:155], v24 offset:1792
	ds_load_b128 v[104:107], v24 offset:3840
	;; [unrolled: 1-line block ×13, first 2 shown]
                                        ; implicit-def: $vgpr68_vgpr69
                                        ; implicit-def: $vgpr76_vgpr77
                                        ; implicit-def: $vgpr72_vgpr73
	s_and_saveexec_b32 s1, s0
	s_cbranch_execz .LBB0_21
; %bb.20:
	ds_load_b128 v[148:151], v24 offset:3584
	ds_load_b128 v[60:63], v24 offset:7424
	;; [unrolled: 1-line block ×7, first 2 shown]
.LBB0_21:
	s_wait_alu 0xfffe
	s_or_b32 exec_lo, exec_lo, s1
	v_and_b32_e32 v0, 0xff, v25
	s_mov_b32 s20, 0xe976ee23
	s_mov_b32 s21, 0xbfe11646
	;; [unrolled: 1-line block ×4, first 2 shown]
	v_mul_lo_u16 v0, 0xab, v0
	s_mov_b32 s10, 0x36b3c0b5
	s_mov_b32 s22, 0x37c3f68c
	;; [unrolled: 1-line block ×4, first 2 shown]
	v_lshrrev_b16 v26, 13, v0
	s_mov_b32 s23, 0x3fdc38aa
	s_mov_b32 s27, 0x3fe948f6
	;; [unrolled: 1-line block ×4, first 2 shown]
	v_mul_lo_u16 v0, v26, 48
	s_mov_b32 s24, 0xb247c609
	s_mov_b32 s15, 0xbff2aaaa
	s_mov_b32 s19, 0x3fe77f67
	s_mov_b32 s29, 0xbfe77f67
	v_sub_nc_u16 v0, v25, v0
	s_mov_b32 s25, 0x3fd5d0dc
	s_mov_b32 s31, 0xbfd5d0dc
	;; [unrolled: 1-line block ×4, first 2 shown]
	v_and_b32_e32 v27, 0xff, v0
	s_delay_alu instid0(VALU_DEP_1) | instskip(SKIP_3) | instid1(VALU_DEP_1)
	v_mad_co_u64_u32 v[16:17], null, 0x60, v27, s[2:3]
	global_load_b128 v[100:103], v[16:17], off offset:736
	s_wait_loadcnt_dscnt 0xb
	v_mul_f64_e32 v[0:1], v[106:107], v[102:103]
	v_fma_f64 v[186:187], v[104:105], v[100:101], -v[0:1]
	v_mul_f64_e32 v[0:1], v[104:105], v[102:103]
	s_delay_alu instid0(VALU_DEP_1) | instskip(SKIP_3) | instid1(VALU_DEP_1)
	v_fma_f64 v[188:189], v[106:107], v[100:101], v[0:1]
	global_load_b128 v[104:107], v[16:17], off offset:752
	s_wait_loadcnt_dscnt 0x9
	v_mul_f64_e32 v[0:1], v[110:111], v[106:107]
	v_fma_f64 v[190:191], v[108:109], v[104:105], -v[0:1]
	v_mul_f64_e32 v[0:1], v[108:109], v[106:107]
	s_delay_alu instid0(VALU_DEP_1) | instskip(SKIP_3) | instid1(VALU_DEP_1)
	v_fma_f64 v[192:193], v[110:111], v[104:105], v[0:1]
	global_load_b128 v[108:111], v[16:17], off offset:816
	s_wait_loadcnt_dscnt 0x1
	v_mul_f64_e32 v[0:1], v[114:115], v[110:111]
	v_fma_f64 v[194:195], v[112:113], v[108:109], -v[0:1]
	v_mul_f64_e32 v[0:1], v[112:113], v[110:111]
	s_delay_alu instid0(VALU_DEP_1) | instskip(SKIP_4) | instid1(VALU_DEP_1)
	v_fma_f64 v[196:197], v[114:115], v[108:109], v[0:1]
	global_load_b128 v[112:115], v[16:17], off offset:800
	v_add_f64_e32 v[44:45], v[188:189], v[196:197]
	s_wait_loadcnt 0x0
	v_mul_f64_e32 v[0:1], v[118:119], v[114:115]
	v_fma_f64 v[198:199], v[116:117], v[112:113], -v[0:1]
	v_mul_f64_e32 v[0:1], v[116:117], v[114:115]
	s_delay_alu instid0(VALU_DEP_1) | instskip(SKIP_1) | instid1(VALU_DEP_1)
	v_fma_f64 v[200:201], v[118:119], v[112:113], v[0:1]
	v_and_b32_e32 v0, 0xff, v203
	v_mul_lo_u16 v0, 0xab, v0
	s_delay_alu instid0(VALU_DEP_1) | instskip(NEXT) | instid1(VALU_DEP_1)
	v_lshrrev_b16 v204, 13, v0
	v_mul_lo_u16 v0, v204, 48
	s_delay_alu instid0(VALU_DEP_1) | instskip(NEXT) | instid1(VALU_DEP_1)
	v_sub_nc_u16 v0, v203, v0
	v_and_b32_e32 v205, 0xff, v0
	s_delay_alu instid0(VALU_DEP_1)
	v_mad_co_u64_u32 v[18:19], null, 0x60, v205, s[2:3]
	v_add_f64_e32 v[46:47], v[192:193], v[200:201]
	s_clause 0x1
	global_load_b128 v[116:119], v[18:19], off offset:736
	global_load_b128 v[144:147], v[18:19], off offset:784
	v_add_f64_e32 v[50:51], v[46:47], v[44:45]
	s_wait_loadcnt 0x1
	v_mul_f64_e32 v[0:1], v[126:127], v[118:119]
	v_mul_f64_e32 v[2:3], v[124:125], v[118:119]
	s_delay_alu instid0(VALU_DEP_2) | instskip(NEXT) | instid1(VALU_DEP_2)
	v_fma_f64 v[0:1], v[124:125], v[116:117], -v[0:1]
	v_fma_f64 v[2:3], v[126:127], v[116:117], v[2:3]
	global_load_b128 v[124:127], v[18:19], off offset:752
	s_wait_loadcnt 0x0
	v_mul_f64_e32 v[4:5], v[130:131], v[126:127]
	v_mul_f64_e32 v[6:7], v[128:129], v[126:127]
	s_delay_alu instid0(VALU_DEP_2) | instskip(NEXT) | instid1(VALU_DEP_2)
	v_fma_f64 v[4:5], v[128:129], v[124:125], -v[4:5]
	v_fma_f64 v[6:7], v[130:131], v[124:125], v[6:7]
	global_load_b128 v[128:131], v[18:19], off offset:816
	s_wait_loadcnt_dscnt 0x0
	v_mul_f64_e32 v[8:9], v[134:135], v[130:131]
	v_mul_f64_e32 v[10:11], v[132:133], v[130:131]
	s_delay_alu instid0(VALU_DEP_2) | instskip(NEXT) | instid1(VALU_DEP_2)
	v_fma_f64 v[8:9], v[132:133], v[128:129], -v[8:9]
	v_fma_f64 v[10:11], v[134:135], v[128:129], v[10:11]
	global_load_b128 v[132:135], v[18:19], off offset:800
	v_add_f64_e32 v[52:53], v[0:1], v[8:9]
	v_add_f64_e32 v[217:218], v[2:3], v[10:11]
	v_add_f64_e64 v[8:9], v[0:1], -v[8:9]
	v_add_f64_e64 v[10:11], v[2:3], -v[10:11]
	s_wait_loadcnt 0x0
	v_mul_f64_e32 v[12:13], v[138:139], v[134:135]
	v_mul_f64_e32 v[14:15], v[136:137], v[134:135]
	s_delay_alu instid0(VALU_DEP_2) | instskip(NEXT) | instid1(VALU_DEP_2)
	v_fma_f64 v[12:13], v[136:137], v[132:133], -v[12:13]
	v_fma_f64 v[14:15], v[138:139], v[132:133], v[14:15]
	global_load_b128 v[136:139], v[16:17], off offset:768
	v_add_f64_e32 v[54:55], v[4:5], v[12:13]
	v_add_f64_e32 v[228:229], v[6:7], v[14:15]
	v_add_f64_e64 v[4:5], v[4:5], -v[12:13]
	v_add_f64_e64 v[6:7], v[6:7], -v[14:15]
	s_delay_alu instid0(VALU_DEP_4) | instskip(SKIP_2) | instid1(VALU_DEP_1)
	v_add_f64_e32 v[207:208], v[54:55], v[52:53]
	s_wait_loadcnt 0x0
	v_mul_f64_e32 v[20:21], v[142:143], v[138:139]
	v_fma_f64 v[28:29], v[140:141], v[136:137], -v[20:21]
	v_mul_f64_e32 v[20:21], v[140:141], v[138:139]
	s_delay_alu instid0(VALU_DEP_1) | instskip(SKIP_3) | instid1(VALU_DEP_1)
	v_fma_f64 v[30:31], v[142:143], v[136:137], v[20:21]
	global_load_b128 v[140:143], v[16:17], off offset:784
	s_wait_loadcnt 0x0
	v_mul_f64_e32 v[16:17], v[122:123], v[142:143]
	v_fma_f64 v[32:33], v[120:121], v[140:141], -v[16:17]
	v_mul_f64_e32 v[16:17], v[120:121], v[142:143]
	s_delay_alu instid0(VALU_DEP_2) | instskip(NEXT) | instid1(VALU_DEP_2)
	v_add_f64_e32 v[40:41], v[28:29], v[32:33]
	v_fma_f64 v[34:35], v[122:123], v[140:141], v[16:17]
	global_load_b128 v[120:123], v[18:19], off offset:768
	v_add_f64_e64 v[28:29], v[32:33], -v[28:29]
	v_add_f64_e64 v[32:33], v[192:193], -v[200:201]
	v_add_f64_e32 v[48:49], v[30:31], v[34:35]
	v_add_f64_e64 v[30:31], v[34:35], -v[30:31]
	v_add_f64_e64 v[34:35], v[188:189], -v[196:197]
	s_delay_alu instid0(VALU_DEP_3) | instskip(NEXT) | instid1(VALU_DEP_3)
	v_add_f64_e32 v[50:51], v[48:49], v[50:51]
	v_add_f64_e32 v[192:193], v[30:31], v[32:33]
	s_delay_alu instid0(VALU_DEP_2) | instskip(NEXT) | instid1(VALU_DEP_2)
	v_add_f64_e32 v[158:159], v[158:159], v[50:51]
	v_add_f64_e32 v[225:226], v[192:193], v[34:35]
	s_wait_alu 0xfffe
	s_delay_alu instid0(VALU_DEP_2) | instskip(SKIP_2) | instid1(VALU_DEP_1)
	v_fma_f64 v[50:51], v[50:51], s[14:15], v[158:159]
	s_wait_loadcnt 0x0
	v_mul_f64_e32 v[16:17], v[66:67], v[122:123]
	v_fma_f64 v[180:181], v[64:65], v[120:121], -v[16:17]
	v_mul_f64_e32 v[16:17], v[64:65], v[122:123]
	s_delay_alu instid0(VALU_DEP_1) | instskip(SKIP_1) | instid1(VALU_DEP_1)
	v_fma_f64 v[178:179], v[66:67], v[120:121], v[16:17]
	v_mul_f64_e32 v[16:17], v[58:59], v[146:147]
	v_fma_f64 v[184:185], v[56:57], v[144:145], -v[16:17]
	v_mul_f64_e32 v[16:17], v[56:57], v[146:147]
	s_delay_alu instid0(VALU_DEP_2) | instskip(NEXT) | instid1(VALU_DEP_2)
	v_add_f64_e64 v[12:13], v[184:185], -v[180:181]
	v_fma_f64 v[182:183], v[58:59], v[144:145], v[16:17]
	v_and_b32_e32 v16, 0xffff, v202
	s_delay_alu instid0(VALU_DEP_1) | instskip(NEXT) | instid1(VALU_DEP_1)
	v_mul_u32_u24_e32 v16, 0xaaab, v16
	v_lshrrev_b32_e32 v16, 21, v16
	s_delay_alu instid0(VALU_DEP_1) | instskip(NEXT) | instid1(VALU_DEP_1)
	v_mul_lo_u16 v16, v16, 48
	v_sub_nc_u16 v206, v202, v16
	s_delay_alu instid0(VALU_DEP_1) | instskip(NEXT) | instid1(VALU_DEP_1)
	v_mul_lo_u16 v16, 0x60, v206
	v_and_b32_e32 v16, 0xffff, v16
	s_delay_alu instid0(VALU_DEP_1)
	v_add_co_u32 v36, s1, s2, v16
	s_wait_alu 0xf1ff
	v_add_co_ci_u32_e64 v37, null, s3, 0, s1
	v_add_f64_e32 v[230:231], v[178:179], v[182:183]
	v_add_f64_e64 v[14:15], v[182:183], -v[178:179]
	v_add_f64_e64 v[2:3], v[12:13], -v[4:5]
	s_clause 0x1
	global_load_b128 v[56:59], v[36:37], off offset:736
	global_load_b128 v[64:67], v[36:37], off offset:816
	v_add_f64_e32 v[0:1], v[12:13], v[4:5]
	s_wait_loadcnt 0x1
	v_mul_f64_e32 v[16:17], v[62:63], v[58:59]
	s_wait_loadcnt 0x0
	v_mul_f64_e32 v[38:39], v[166:167], v[66:67]
	s_delay_alu instid0(VALU_DEP_2) | instskip(SKIP_1) | instid1(VALU_DEP_3)
	v_fma_f64 v[18:19], v[60:61], v[56:57], -v[16:17]
	v_mul_f64_e32 v[16:17], v[60:61], v[58:59]
	v_fma_f64 v[168:169], v[164:165], v[64:65], -v[38:39]
	v_mul_f64_e32 v[38:39], v[164:165], v[66:67]
	s_delay_alu instid0(VALU_DEP_3) | instskip(SKIP_4) | instid1(VALU_DEP_3)
	v_fma_f64 v[16:17], v[62:63], v[56:57], v[16:17]
	global_load_b128 v[60:63], v[36:37], off offset:752
	v_fma_f64 v[164:165], v[166:167], v[64:65], v[38:39]
	v_add_f64_e32 v[234:235], v[18:19], v[168:169]
	v_add_f64_e64 v[18:19], v[18:19], -v[168:169]
	v_add_f64_e32 v[242:243], v[16:17], v[164:165]
	v_add_f64_e64 v[16:17], v[16:17], -v[164:165]
	s_wait_loadcnt 0x0
	v_mul_f64_e32 v[20:21], v[70:71], v[62:63]
	s_delay_alu instid0(VALU_DEP_1) | instskip(SKIP_1) | instid1(VALU_DEP_1)
	v_fma_f64 v[22:23], v[68:69], v[60:61], -v[20:21]
	v_mul_f64_e32 v[20:21], v[68:69], v[62:63]
	v_fma_f64 v[20:21], v[70:71], v[60:61], v[20:21]
	global_load_b128 v[68:71], v[36:37], off offset:800
	s_wait_loadcnt 0x0
	v_mul_f64_e32 v[38:39], v[74:75], v[70:71]
	s_delay_alu instid0(VALU_DEP_1) | instskip(SKIP_1) | instid1(VALU_DEP_2)
	v_fma_f64 v[170:171], v[72:73], v[68:69], -v[38:39]
	v_mul_f64_e32 v[38:39], v[72:73], v[70:71]
	v_add_f64_e32 v[236:237], v[22:23], v[170:171]
	s_delay_alu instid0(VALU_DEP_2)
	v_fma_f64 v[166:167], v[74:75], v[68:69], v[38:39]
	global_load_b128 v[72:75], v[36:37], off offset:768
	v_add_f64_e64 v[22:23], v[22:23], -v[170:171]
	v_add_f64_e32 v[244:245], v[20:21], v[166:167]
	v_add_f64_e64 v[20:21], v[20:21], -v[166:167]
	s_wait_loadcnt 0x0
	v_mul_f64_e32 v[38:39], v[78:79], v[74:75]
	s_delay_alu instid0(VALU_DEP_1) | instskip(SKIP_1) | instid1(VALU_DEP_1)
	v_fma_f64 v[174:175], v[76:77], v[72:73], -v[38:39]
	v_mul_f64_e32 v[38:39], v[76:77], v[74:75]
	v_fma_f64 v[172:173], v[78:79], v[72:73], v[38:39]
	global_load_b128 v[76:79], v[36:37], off offset:784
	v_add_f64_e32 v[38:39], v[190:191], v[198:199]
	v_add_f64_e64 v[190:191], v[190:191], -v[198:199]
	v_add_f64_e64 v[198:199], v[46:47], -v[44:45]
	;; [unrolled: 1-line block ×3, first 2 shown]
	global_wb scope:SCOPE_SE
	s_wait_loadcnt 0x0
	s_barrier_signal -1
	s_barrier_wait -1
	global_inv scope:SCOPE_SE
	v_add_f64_e64 v[188:189], v[28:29], -v[190:191]
	s_delay_alu instid0(VALU_DEP_1) | instskip(SKIP_1) | instid1(VALU_DEP_1)
	v_mul_f64_e32 v[219:220], s[20:21], v[188:189]
	v_mul_f64_e32 v[188:189], s[10:11], v[46:47]
	v_fma_f64 v[188:189], v[198:199], s[18:19], -v[188:189]
	s_delay_alu instid0(VALU_DEP_1) | instskip(SKIP_1) | instid1(VALU_DEP_1)
	v_add_f64_e32 v[209:210], v[188:189], v[50:51]
	v_mul_f64_e32 v[36:37], v[162:163], v[78:79]
	v_fma_f64 v[176:177], v[160:161], v[76:77], -v[36:37]
	v_mul_f64_e32 v[36:37], v[160:161], v[78:79]
	s_delay_alu instid0(VALU_DEP_2) | instskip(NEXT) | instid1(VALU_DEP_2)
	v_add_f64_e32 v[238:239], v[174:175], v[176:177]
	v_fma_f64 v[160:161], v[162:163], v[76:77], v[36:37]
	v_add_f64_e32 v[36:37], v[186:187], v[194:195]
	v_add_f64_e64 v[194:195], v[186:187], -v[194:195]
	v_add_f64_e32 v[162:163], v[180:181], v[184:185]
	v_add_f64_e32 v[186:187], v[28:29], v[190:191]
	;; [unrolled: 1-line block ×4, first 2 shown]
	v_add_f64_e64 v[200:201], v[190:191], -v[194:195]
	v_add_f64_e64 v[190:191], v[30:31], -v[32:33]
	v_add_f64_e32 v[215:216], v[162:163], v[207:208]
	v_add_f64_e32 v[207:208], v[228:229], v[217:218]
	v_add_f64_e64 v[196:197], v[38:39], -v[36:37]
	v_add_f64_e64 v[38:39], v[40:41], -v[38:39]
	;; [unrolled: 1-line block ×3, first 2 shown]
	v_add_f64_e32 v[223:224], v[186:187], v[194:195]
	v_add_f64_e64 v[36:37], v[36:37], -v[40:41]
	v_add_f64_e64 v[30:31], v[34:35], -v[30:31]
	;; [unrolled: 1-line block ×3, first 2 shown]
	v_add_f64_e32 v[42:43], v[40:41], v[42:43]
	v_add_f64_e64 v[40:41], v[44:45], -v[48:49]
	v_mul_f64_e32 v[221:222], s[20:21], v[190:191]
	v_fma_f64 v[190:191], v[200:201], s[12:13], -v[219:220]
	v_add_f64_e32 v[232:233], v[230:231], v[207:208]
	v_add_f64_e32 v[207:208], v[236:237], v[234:235]
	v_mul_f64_e32 v[186:187], s[10:11], v[38:39]
	v_mul_f64_e32 v[34:35], s[12:13], v[200:201]
	v_add_f64_e32 v[152:153], v[152:153], v[215:216]
	v_mul_f64_e32 v[36:37], s[26:27], v[36:37]
	v_add_f64_e32 v[156:157], v[156:157], v[42:43]
	v_mul_f64_e32 v[40:41], s[26:27], v[40:41]
	v_fma_f64 v[192:193], v[223:224], s[22:23], v[190:191]
	v_fma_f64 v[190:191], v[32:33], s[12:13], -v[221:222]
	v_mul_f64_e32 v[32:33], s[12:13], v[32:33]
	v_add_f64_e32 v[240:241], v[238:239], v[207:208]
	v_add_f64_e32 v[207:208], v[244:245], v[242:243]
	v_fma_f64 v[186:187], v[196:197], s[18:19], -v[186:187]
	v_fma_f64 v[44:45], v[196:197], s[28:29], -v[36:37]
	;; [unrolled: 1-line block ×3, first 2 shown]
	v_fma_f64 v[28:29], v[28:29], s[24:25], v[219:220]
	v_add_f64_e32 v[154:155], v[154:155], v[232:233]
	v_fma_f64 v[42:43], v[42:43], s[14:15], v[156:157]
	v_fma_f64 v[48:49], v[198:199], s[28:29], -v[40:41]
	v_add_f64_e32 v[188:189], v[192:193], v[209:210]
	v_fma_f64 v[190:191], v[225:226], s[22:23], v[190:191]
	v_fma_f64 v[32:33], v[30:31], s[30:31], -v[32:33]
	v_fma_f64 v[30:31], v[30:31], s[24:25], v[221:222]
	v_add_f64_e32 v[248:249], v[246:247], v[207:208]
	v_add_f64_e64 v[192:193], v[209:210], -v[192:193]
	v_add_f64_e32 v[148:149], v[148:149], v[240:241]
	v_fma_f64 v[34:35], v[223:224], s[22:23], v[34:35]
	v_fma_f64 v[28:29], v[223:224], s[22:23], v[28:29]
	v_add_f64_e32 v[207:208], v[186:187], v[42:43]
	v_add_f64_e32 v[44:45], v[44:45], v[42:43]
	;; [unrolled: 1-line block ×3, first 2 shown]
	v_fma_f64 v[32:33], v[225:226], s[22:23], v[32:33]
	v_fma_f64 v[30:31], v[225:226], s[22:23], v[30:31]
	v_add_f64_e32 v[150:151], v[150:151], v[248:249]
	v_add_f64_e64 v[186:187], v[207:208], -v[190:191]
	v_add_f64_e32 v[190:191], v[190:191], v[207:208]
	v_add_f64_e64 v[209:210], v[48:49], -v[34:35]
	v_add_f64_e32 v[213:214], v[34:35], v[48:49]
	v_fma_f64 v[34:35], v[46:47], s[10:11], v[40:41]
	v_add_f64_e32 v[207:208], v[32:33], v[44:45]
	v_add_f64_e64 v[211:212], v[44:45], -v[32:33]
	v_fma_f64 v[32:33], v[38:39], s[10:11], v[36:37]
	v_add_f64_e64 v[36:37], v[4:5], -v[8:9]
	v_add_f64_e64 v[4:5], v[14:15], -v[6:7]
	v_mul_f64_e32 v[44:45], s[20:21], v[2:3]
	v_add_f64_e32 v[38:39], v[14:15], v[6:7]
	v_add_f64_e64 v[40:41], v[6:7], -v[10:11]
	v_fma_f64 v[48:49], v[215:216], s[14:15], v[152:153]
	v_add_f64_e32 v[34:35], v[34:35], v[50:51]
	v_fma_f64 v[50:51], v[232:233], s[14:15], v[154:155]
	v_add_f64_e32 v[32:33], v[32:33], v[42:43]
	v_add_f64_e32 v[42:43], v[0:1], v[8:9]
	v_mul_f64_e32 v[46:47], s[20:21], v[4:5]
	v_fma_f64 v[4:5], v[36:37], s[12:13], -v[44:45]
	v_add_f64_e32 v[38:39], v[38:39], v[10:11]
	v_add_f64_e64 v[222:223], v[34:35], -v[28:29]
	v_add_f64_e32 v[226:227], v[28:29], v[34:35]
	v_add_f64_e64 v[28:29], v[54:55], -v[52:53]
	v_add_f64_e32 v[220:221], v[30:31], v[32:33]
	v_add_f64_e64 v[224:225], v[32:33], -v[30:31]
	v_add_f64_e64 v[30:31], v[162:163], -v[54:55]
	v_add_f64_e64 v[34:35], v[230:231], -v[228:229]
	;; [unrolled: 1-line block ×3, first 2 shown]
	v_fma_f64 v[6:7], v[42:43], s[22:23], v[4:5]
	v_fma_f64 v[4:5], v[40:41], s[12:13], -v[46:47]
	v_add_f64_e64 v[52:53], v[52:53], -v[162:163]
	v_add_f64_e64 v[162:163], v[8:9], -v[12:13]
	v_mul_f64_e32 v[8:9], s[12:13], v[36:37]
	v_mul_f64_e32 v[0:1], s[10:11], v[30:31]
	;; [unrolled: 1-line block ×3, first 2 shown]
	v_fma_f64 v[4:5], v[38:39], s[22:23], v[4:5]
	v_mul_f64_e32 v[36:37], s[26:27], v[52:53]
	v_fma_f64 v[52:53], v[240:241], s[14:15], v[148:149]
	v_fma_f64 v[8:9], v[162:163], s[30:31], -v[8:9]
	v_fma_f64 v[0:1], v[28:29], s[18:19], -v[0:1]
	;; [unrolled: 1-line block ×4, first 2 shown]
	v_fma_f64 v[30:31], v[30:31], s[10:11], v[36:37]
	v_fma_f64 v[28:29], v[42:43], s[22:23], v[8:9]
	v_add_f64_e64 v[36:37], v[244:245], -v[242:243]
	v_add_f64_e32 v[54:55], v[0:1], v[48:49]
	v_add_f64_e32 v[178:179], v[2:3], v[50:51]
	;; [unrolled: 1-line block ×4, first 2 shown]
	s_delay_alu instid0(VALU_DEP_4)
	v_add_f64_e64 v[0:1], v[54:55], -v[4:5]
	v_add_f64_e32 v[4:5], v[4:5], v[54:55]
	v_add_f64_e64 v[54:55], v[217:218], -v[230:231]
	v_add_f64_e32 v[2:3], v[6:7], v[178:179]
	v_add_f64_e64 v[6:7], v[178:179], -v[6:7]
	v_add_f64_e64 v[178:179], v[10:11], -v[14:15]
	v_mul_f64_e32 v[10:11], s[12:13], v[40:41]
	v_mul_f64_e32 v[40:41], s[26:27], v[54:55]
	v_fma_f64 v[54:55], v[248:249], s[14:15], v[150:151]
	s_delay_alu instid0(VALU_DEP_3) | instskip(NEXT) | instid1(VALU_DEP_3)
	v_fma_f64 v[10:11], v[178:179], s[30:31], -v[10:11]
	v_fma_f64 v[14:15], v[32:33], s[28:29], -v[40:41]
	v_fma_f64 v[34:35], v[34:35], s[10:11], v[40:41]
	s_delay_alu instid0(VALU_DEP_3) | instskip(NEXT) | instid1(VALU_DEP_3)
	v_fma_f64 v[32:33], v[38:39], s[22:23], v[10:11]
	v_add_f64_e32 v[14:15], v[14:15], v[50:51]
	s_delay_alu instid0(VALU_DEP_3) | instskip(NEXT) | instid1(VALU_DEP_3)
	v_add_f64_e32 v[34:35], v[34:35], v[50:51]
	v_add_f64_e32 v[8:9], v[32:33], v[12:13]
	v_add_f64_e64 v[12:13], v[12:13], -v[32:33]
	v_fma_f64 v[32:33], v[178:179], s[24:25], v[46:47]
	v_add_f64_e64 v[10:11], v[14:15], -v[28:29]
	v_add_f64_e32 v[14:15], v[28:29], v[14:15]
	v_fma_f64 v[28:29], v[162:163], s[24:25], v[44:45]
	s_delay_alu instid0(VALU_DEP_4) | instskip(SKIP_1) | instid1(VALU_DEP_3)
	v_fma_f64 v[32:33], v[38:39], s[22:23], v[32:33]
	v_add_f64_e64 v[38:39], v[246:247], -v[244:245]
	v_fma_f64 v[28:29], v[42:43], s[22:23], v[28:29]
	s_delay_alu instid0(VALU_DEP_3)
	v_add_f64_e32 v[180:181], v[32:33], v[30:31]
	v_add_f64_e64 v[228:229], v[30:31], -v[32:33]
	v_add_f64_e64 v[30:31], v[160:161], -v[172:173]
	;; [unrolled: 1-line block ×3, first 2 shown]
	v_mul_f64_e32 v[50:51], s[10:11], v[38:39]
	v_add_f64_e64 v[182:183], v[34:35], -v[28:29]
	v_add_f64_e32 v[230:231], v[28:29], v[34:35]
	v_add_f64_e64 v[28:29], v[176:177], -v[174:175]
	v_add_f64_e64 v[34:35], v[238:239], -v[236:237]
	;; [unrolled: 1-line block ×3, first 2 shown]
	v_add_f64_e32 v[44:45], v[30:31], v[20:21]
	v_add_f64_e64 v[20:21], v[20:21], -v[16:17]
	v_fma_f64 v[50:51], v[36:37], s[18:19], -v[50:51]
	v_add_f64_e64 v[42:43], v[28:29], -v[22:23]
	v_add_f64_e32 v[40:41], v[28:29], v[22:23]
	v_add_f64_e64 v[22:23], v[22:23], -v[18:19]
	v_mul_f64_e32 v[48:49], s[10:11], v[34:35]
	v_mul_f64_e32 v[46:47], s[20:21], v[46:47]
	v_add_f64_e32 v[44:45], v[44:45], v[16:17]
	v_add_f64_e64 v[16:17], v[16:17], -v[30:31]
	v_add_f64_e32 v[50:51], v[50:51], v[54:55]
	v_mul_f64_e32 v[42:43], s[20:21], v[42:43]
	v_add_f64_e32 v[40:41], v[40:41], v[18:19]
	v_add_f64_e64 v[18:19], v[18:19], -v[28:29]
	v_fma_f64 v[48:49], v[32:33], s[18:19], -v[48:49]
	v_fma_f64 v[162:163], v[20:21], s[12:13], -v[46:47]
	v_mul_f64_e32 v[20:21], s[12:13], v[20:21]
	v_fma_f64 v[160:161], v[22:23], s[12:13], -v[42:43]
	v_mul_f64_e32 v[22:23], s[12:13], v[22:23]
	v_add_f64_e32 v[48:49], v[48:49], v[52:53]
	v_fma_f64 v[162:163], v[44:45], s[22:23], v[162:163]
	v_fma_f64 v[20:21], v[16:17], s[30:31], -v[20:21]
	v_fma_f64 v[16:17], v[16:17], s[24:25], v[46:47]
	v_fma_f64 v[160:161], v[40:41], s[22:23], v[160:161]
	v_fma_f64 v[22:23], v[18:19], s[30:31], -v[22:23]
	v_fma_f64 v[18:19], v[18:19], s[24:25], v[42:43]
	v_add_f64_e64 v[164:165], v[48:49], -v[162:163]
	v_add_f64_e32 v[168:169], v[162:163], v[48:49]
	v_add_f64_e64 v[48:49], v[234:235], -v[238:239]
	v_fma_f64 v[20:21], v[44:45], s[22:23], v[20:21]
	v_fma_f64 v[16:17], v[44:45], s[22:23], v[16:17]
	v_add_f64_e32 v[166:167], v[160:161], v[50:51]
	v_add_f64_e64 v[170:171], v[50:51], -v[160:161]
	v_add_f64_e64 v[50:51], v[242:243], -v[246:247]
	v_fma_f64 v[22:23], v[40:41], s[22:23], v[22:23]
	v_fma_f64 v[18:19], v[40:41], s[22:23], v[18:19]
	v_mul_f64_e32 v[28:29], s[26:27], v[48:49]
	s_delay_alu instid0(VALU_DEP_4) | instskip(NEXT) | instid1(VALU_DEP_2)
	v_mul_f64_e32 v[30:31], s[26:27], v[50:51]
	v_fma_f64 v[32:33], v[32:33], s[28:29], -v[28:29]
	s_delay_alu instid0(VALU_DEP_2) | instskip(NEXT) | instid1(VALU_DEP_2)
	v_fma_f64 v[36:37], v[36:37], s[28:29], -v[30:31]
	v_add_f64_e32 v[32:33], v[32:33], v[52:53]
	s_delay_alu instid0(VALU_DEP_2) | instskip(NEXT) | instid1(VALU_DEP_2)
	v_add_f64_e32 v[36:37], v[36:37], v[54:55]
	v_add_f64_e32 v[172:173], v[20:21], v[32:33]
	v_add_f64_e64 v[176:177], v[32:33], -v[20:21]
	v_fma_f64 v[20:21], v[34:35], s[10:11], v[28:29]
	s_delay_alu instid0(VALU_DEP_4) | instskip(SKIP_2) | instid1(VALU_DEP_4)
	v_add_f64_e64 v[174:175], v[36:37], -v[22:23]
	v_add_f64_e32 v[178:179], v[22:23], v[36:37]
	v_fma_f64 v[22:23], v[38:39], s[10:11], v[30:31]
	v_add_f64_e32 v[20:21], v[20:21], v[52:53]
	s_delay_alu instid0(VALU_DEP_2) | instskip(NEXT) | instid1(VALU_DEP_2)
	v_add_f64_e32 v[22:23], v[22:23], v[54:55]
	v_add_f64_e32 v[216:217], v[16:17], v[20:21]
	v_add_f64_e64 v[196:197], v[20:21], -v[16:17]
	v_and_b32_e32 v16, 0xffff, v26
	s_delay_alu instid0(VALU_DEP_1) | instskip(NEXT) | instid1(VALU_DEP_1)
	v_mul_u32_u24_e32 v16, 0x150, v16
	v_add_lshl_u32 v27, v16, v27, 4
	v_and_b32_e32 v16, 0xffff, v204
	ds_store_b128 v27, v[156:159]
	ds_store_b128 v27, v[220:223] offset:768
	ds_store_b128 v27, v[207:210] offset:1536
	;; [unrolled: 1-line block ×6, first 2 shown]
	v_mul_u32_u24_e32 v16, 0x150, v16
	s_delay_alu instid0(VALU_DEP_1)
	v_add_lshl_u32 v26, v16, v205, 4
	ds_store_b128 v26, v[152:155]
	ds_store_b128 v26, v[180:183] offset:768
	ds_store_b128 v26, v[8:11] offset:1536
	;; [unrolled: 1-line block ×6, first 2 shown]
	v_and_b32_e32 v0, 0xffff, v206
	v_add_f64_e64 v[218:219], v[22:23], -v[18:19]
	v_add_f64_e32 v[198:199], v[18:19], v[22:23]
	scratch_store_b32 off, v0, off offset:372 ; 4-byte Folded Spill
	s_and_saveexec_b32 s1, s0
	s_cbranch_execz .LBB0_23
; %bb.22:
	scratch_load_b32 v0, off, off offset:372 ; 4-byte Folded Reload
	s_wait_loadcnt 0x0
	v_lshlrev_b32_e32 v0, 4, v0
	ds_store_b128 v0, v[148:151] offset:21504
	ds_store_b128 v0, v[216:219] offset:22272
	;; [unrolled: 1-line block ×7, first 2 shown]
.LBB0_23:
	s_wait_alu 0xfffe
	s_or_b32 exec_lo, exec_lo, s1
	v_lshlrev_b32_e32 v16, 6, v25
	global_wb scope:SCOPE_SE
	s_wait_storecnt_dscnt 0x0
	s_barrier_signal -1
	s_barrier_wait -1
	global_inv scope:SCOPE_SE
	s_clause 0x3
	global_load_b128 v[156:159], v16, s[2:3] offset:5344
	global_load_b128 v[152:155], v16, s[2:3] offset:5360
	global_load_b128 v[148:151], v16, s[2:3] offset:5376
	global_load_b128 v[160:163], v16, s[2:3] offset:5392
	ds_load_b128 v[0:3], v24 offset:5376
	ds_load_b128 v[4:7], v24 offset:10752
	ds_load_b128 v[232:235], v24
	ds_load_b128 v[248:251], v24 offset:1792
	s_mov_b32 s12, 0x134454ff
	s_mov_b32 s13, 0x3fee6f0e
	s_mov_b32 s15, 0xbfee6f0e
	s_wait_alu 0xfffe
	s_mov_b32 s14, s12
	s_mov_b32 s11, 0xbfe2cf23
	s_mov_b32 s18, 0x372fe950
	s_mov_b32 s19, 0x3fd3c6ef
	ds_load_b128 v[224:227], v24 offset:25088
	s_wait_loadcnt_dscnt 0x304
	v_mul_f64_e32 v[8:9], v[2:3], v[158:159]
	s_wait_loadcnt_dscnt 0x203
	v_mul_f64_e32 v[14:15], v[4:5], v[154:155]
	v_mul_f64_e32 v[12:13], v[6:7], v[154:155]
	;; [unrolled: 1-line block ×3, first 2 shown]
	s_delay_alu instid0(VALU_DEP_4) | instskip(NEXT) | instid1(VALU_DEP_4)
	v_fma_f64 v[28:29], v[0:1], v[156:157], -v[8:9]
	v_fma_f64 v[34:35], v[6:7], v[152:153], v[14:15]
	v_lshlrev_b32_e32 v6, 6, v203
	s_delay_alu instid0(VALU_DEP_4)
	v_fma_f64 v[30:31], v[2:3], v[156:157], v[10:11]
	ds_load_b128 v[0:3], v24 offset:16128
	v_fma_f64 v[32:33], v[4:5], v[152:153], -v[12:13]
	v_lshlrev_b32_e32 v14, 6, v202
	s_clause 0x7
	global_load_b128 v[180:183], v6, s[2:3] offset:5344
	global_load_b128 v[184:187], v6, s[2:3] offset:5360
	;; [unrolled: 1-line block ×8, first 2 shown]
	s_mov_b32 s2, 0x4755a5e
	s_mov_b32 s3, 0x3fe2cf23
	s_wait_alu 0xfffe
	s_mov_b32 s10, s2
	ds_load_b128 v[10:13], v24 offset:19712
	s_wait_loadcnt_dscnt 0x901
	v_mul_f64_e32 v[8:9], v[2:3], v[150:151]
	v_mul_f64_e32 v[4:5], v[0:1], v[150:151]
	v_add_f64_e64 v[44:45], v[28:29], -v[32:33]
	s_delay_alu instid0(VALU_DEP_3) | instskip(NEXT) | instid1(VALU_DEP_3)
	v_fma_f64 v[36:37], v[0:1], v[148:149], -v[8:9]
	v_fma_f64 v[38:39], v[2:3], v[148:149], v[4:5]
	ds_load_b128 v[0:3], v24 offset:21504
	ds_load_b128 v[6:9], v24 offset:14336
	s_wait_loadcnt_dscnt 0x801
	v_mul_f64_e32 v[4:5], v[2:3], v[162:163]
	v_add_f64_e64 v[238:239], v[32:33], -v[36:37]
	v_add_f64_e32 v[50:51], v[34:35], v[38:39]
	v_add_f64_e64 v[54:55], v[34:35], -v[38:39]
	s_delay_alu instid0(VALU_DEP_4) | instskip(SKIP_1) | instid1(VALU_DEP_4)
	v_fma_f64 v[40:41], v[0:1], v[160:161], -v[4:5]
	v_mul_f64_e32 v[0:1], v[0:1], v[162:163]
	v_fma_f64 v[50:51], v[50:51], -0.5, v[234:235]
	s_delay_alu instid0(VALU_DEP_3) | instskip(NEXT) | instid1(VALU_DEP_3)
	v_add_f64_e64 v[46:47], v[40:41], -v[36:37]
	v_fma_f64 v[42:43], v[2:3], v[160:161], v[0:1]
	ds_load_b128 v[0:3], v24 offset:7168
	v_add_f64_e64 v[236:237], v[28:29], -v[40:41]
	v_add_f64_e32 v[44:45], v[44:45], v[46:47]
	v_add_f64_e64 v[46:47], v[30:31], -v[34:35]
	v_add_f64_e64 v[48:49], v[42:43], -v[38:39]
	;; [unrolled: 1-line block ×3, first 2 shown]
	s_delay_alu instid0(VALU_DEP_2) | instskip(SKIP_1) | instid1(VALU_DEP_1)
	v_add_f64_e32 v[46:47], v[46:47], v[48:49]
	v_add_f64_e32 v[48:49], v[32:33], v[36:37]
	v_fma_f64 v[48:49], v[48:49], -0.5, v[232:233]
	s_wait_loadcnt_dscnt 0x700
	v_mul_f64_e32 v[4:5], v[2:3], v[182:183]
	s_wait_loadcnt 0x0
	v_mul_f64_e32 v[14:15], v[224:225], v[214:215]
	s_delay_alu instid0(VALU_DEP_2) | instskip(SKIP_1) | instid1(VALU_DEP_3)
	v_fma_f64 v[18:19], v[0:1], v[180:181], -v[4:5]
	v_mul_f64_e32 v[0:1], v[0:1], v[182:183]
	v_fma_f64 v[14:15], v[226:227], v[212:213], v[14:15]
	s_delay_alu instid0(VALU_DEP_2) | instskip(SKIP_3) | instid1(VALU_DEP_1)
	v_fma_f64 v[16:17], v[2:3], v[180:181], v[0:1]
	ds_load_b128 v[0:3], v24 offset:12544
	s_wait_dscnt 0x0
	v_mul_f64_e32 v[4:5], v[2:3], v[186:187]
	v_fma_f64 v[222:223], v[0:1], v[184:185], -v[4:5]
	v_mul_f64_e32 v[0:1], v[0:1], v[186:187]
	s_delay_alu instid0(VALU_DEP_1) | instskip(SKIP_3) | instid1(VALU_DEP_1)
	v_fma_f64 v[20:21], v[2:3], v[184:185], v[0:1]
	ds_load_b128 v[0:3], v24 offset:17920
	s_wait_dscnt 0x0
	v_mul_f64_e32 v[4:5], v[2:3], v[190:191]
	v_fma_f64 v[220:221], v[0:1], v[188:189], -v[4:5]
	v_mul_f64_e32 v[0:1], v[0:1], v[190:191]
	s_delay_alu instid0(VALU_DEP_1) | instskip(SKIP_3) | instid1(VALU_DEP_1)
	;; [unrolled: 7-line block ×3, first 2 shown]
	v_fma_f64 v[246:247], v[2:3], v[192:193], v[0:1]
	ds_load_b128 v[2:5], v24 offset:8960
	s_wait_dscnt 0x0
	v_mul_f64_e32 v[0:1], v[4:5], v[202:203]
	v_fma_f64 v[0:1], v[2:3], v[200:201], -v[0:1]
	v_mul_f64_e32 v[2:3], v[2:3], v[202:203]
	s_delay_alu instid0(VALU_DEP_1) | instskip(SKIP_1) | instid1(VALU_DEP_1)
	v_fma_f64 v[2:3], v[4:5], v[200:201], v[2:3]
	v_mul_f64_e32 v[4:5], v[8:9], v[206:207]
	v_fma_f64 v[4:5], v[6:7], v[204:205], -v[4:5]
	v_mul_f64_e32 v[6:7], v[6:7], v[206:207]
	s_delay_alu instid0(VALU_DEP_1) | instskip(SKIP_1) | instid1(VALU_DEP_1)
	v_fma_f64 v[6:7], v[8:9], v[204:205], v[6:7]
	v_mul_f64_e32 v[8:9], v[12:13], v[210:211]
	v_fma_f64 v[8:9], v[10:11], v[208:209], -v[8:9]
	v_mul_f64_e32 v[10:11], v[10:11], v[210:211]
	s_delay_alu instid0(VALU_DEP_1) | instskip(SKIP_3) | instid1(VALU_DEP_3)
	v_fma_f64 v[10:11], v[12:13], v[208:209], v[10:11]
	v_mul_f64_e32 v[12:13], v[226:227], v[214:215]
	v_fma_f64 v[226:227], v[236:237], s[14:15], v[50:51]
	v_fma_f64 v[50:51], v[236:237], s[12:13], v[50:51]
	v_fma_f64 v[12:13], v[224:225], v[212:213], -v[12:13]
	v_fma_f64 v[224:225], v[52:53], s[12:13], v[48:49]
	v_fma_f64 v[48:49], v[52:53], s[14:15], v[48:49]
	s_delay_alu instid0(VALU_DEP_4) | instskip(SKIP_2) | instid1(VALU_DEP_4)
	v_fma_f64 v[50:51], v[238:239], s[2:3], v[50:51]
	s_wait_alu 0xfffe
	v_fma_f64 v[226:227], v[238:239], s[10:11], v[226:227]
	v_fma_f64 v[224:225], v[54:55], s[2:3], v[224:225]
	s_delay_alu instid0(VALU_DEP_4) | instskip(NEXT) | instid1(VALU_DEP_4)
	v_fma_f64 v[48:49], v[54:55], s[10:11], v[48:49]
	v_fma_f64 v[230:231], v[46:47], s[18:19], v[50:51]
	v_add_f64_e32 v[50:51], v[234:235], v[30:31]
	v_fma_f64 v[226:227], v[46:47], s[18:19], v[226:227]
	v_add_f64_e32 v[46:47], v[30:31], v[42:43]
	v_add_f64_e64 v[30:31], v[34:35], -v[30:31]
	v_fma_f64 v[224:225], v[44:45], s[18:19], v[224:225]
	v_fma_f64 v[228:229], v[44:45], s[18:19], v[48:49]
	v_add_f64_e32 v[48:49], v[232:233], v[28:29]
	v_add_f64_e32 v[44:45], v[28:29], v[40:41]
	v_add_f64_e64 v[28:29], v[32:33], -v[28:29]
	v_fma_f64 v[46:47], v[46:47], -0.5, v[234:235]
	s_delay_alu instid0(VALU_DEP_4) | instskip(SKIP_2) | instid1(VALU_DEP_3)
	v_add_f64_e32 v[32:33], v[48:49], v[32:33]
	v_add_f64_e32 v[48:49], v[50:51], v[34:35]
	v_fma_f64 v[44:45], v[44:45], -0.5, v[232:233]
	v_add_f64_e32 v[32:33], v[32:33], v[36:37]
	s_delay_alu instid0(VALU_DEP_3) | instskip(SKIP_2) | instid1(VALU_DEP_4)
	v_add_f64_e32 v[34:35], v[48:49], v[38:39]
	v_add_f64_e64 v[36:37], v[36:37], -v[40:41]
	v_add_f64_e64 v[48:49], v[222:223], -v[18:19]
	v_add_f64_e32 v[240:241], v[32:33], v[40:41]
	s_delay_alu instid0(VALU_DEP_4)
	v_add_f64_e32 v[242:243], v[34:35], v[42:43]
	v_add_f64_e64 v[32:33], v[38:39], -v[42:43]
	v_fma_f64 v[34:35], v[54:55], s[14:15], v[44:45]
	v_fma_f64 v[38:39], v[54:55], s[12:13], v[44:45]
	;; [unrolled: 1-line block ×4, first 2 shown]
	v_add_f64_e32 v[28:29], v[28:29], v[36:37]
	v_add_f64_e64 v[44:45], v[222:223], -v[220:221]
	v_add_f64_e32 v[30:31], v[30:31], v[32:33]
	v_fma_f64 v[32:33], v[52:53], s[2:3], v[34:35]
	v_fma_f64 v[34:35], v[52:53], s[10:11], v[38:39]
	;; [unrolled: 1-line block ×4, first 2 shown]
	v_add_f64_e64 v[42:43], v[18:19], -v[244:245]
	v_add_f64_e64 v[52:53], v[0:1], -v[4:5]
	v_fma_f64 v[232:233], v[28:29], s[18:19], v[32:33]
	v_fma_f64 v[236:237], v[28:29], s[18:19], v[34:35]
	;; [unrolled: 1-line block ×4, first 2 shown]
	v_add_f64_e64 v[28:29], v[18:19], -v[222:223]
	v_add_f64_e64 v[30:31], v[244:245], -v[220:221]
	;; [unrolled: 1-line block ×3, first 2 shown]
	v_add_f64_e32 v[34:35], v[20:21], v[22:23]
	v_add_f64_e64 v[36:37], v[16:17], -v[246:247]
	v_add_f64_e64 v[38:39], v[20:21], -v[22:23]
	v_add_f64_e32 v[28:29], v[28:29], v[30:31]
	v_add_f64_e64 v[30:31], v[16:17], -v[20:21]
	v_fma_f64 v[34:35], v[34:35], -0.5, v[250:251]
	s_delay_alu instid0(VALU_DEP_2) | instskip(SKIP_1) | instid1(VALU_DEP_3)
	v_add_f64_e32 v[30:31], v[30:31], v[32:33]
	v_add_f64_e32 v[32:33], v[222:223], v[220:221]
	v_fma_f64 v[46:47], v[42:43], s[14:15], v[34:35]
	v_fma_f64 v[34:35], v[42:43], s[12:13], v[34:35]
	s_delay_alu instid0(VALU_DEP_3) | instskip(NEXT) | instid1(VALU_DEP_3)
	v_fma_f64 v[32:33], v[32:33], -0.5, v[248:249]
	v_fma_f64 v[46:47], v[44:45], s[10:11], v[46:47]
	s_delay_alu instid0(VALU_DEP_3) | instskip(NEXT) | instid1(VALU_DEP_3)
	v_fma_f64 v[34:35], v[44:45], s[2:3], v[34:35]
	v_fma_f64 v[40:41], v[36:37], s[12:13], v[32:33]
	;; [unrolled: 1-line block ×3, first 2 shown]
	s_delay_alu instid0(VALU_DEP_4) | instskip(NEXT) | instid1(VALU_DEP_4)
	v_fma_f64 v[254:255], v[30:31], s[18:19], v[46:47]
	v_fma_f64 v[30:31], v[30:31], s[18:19], v[34:35]
	v_add_f64_e32 v[34:35], v[16:17], v[246:247]
	v_add_f64_e32 v[46:47], v[250:251], v[16:17]
	v_fma_f64 v[40:41], v[38:39], s[2:3], v[40:41]
	v_fma_f64 v[32:33], v[38:39], s[10:11], v[32:33]
	s_delay_alu instid0(VALU_DEP_4) | instskip(NEXT) | instid1(VALU_DEP_3)
	v_fma_f64 v[34:35], v[34:35], -0.5, v[250:251]
	v_fma_f64 v[252:253], v[28:29], s[18:19], v[40:41]
	s_delay_alu instid0(VALU_DEP_3) | instskip(SKIP_2) | instid1(VALU_DEP_2)
	v_fma_f64 v[28:29], v[28:29], s[18:19], v[32:33]
	v_add_f64_e32 v[32:33], v[18:19], v[244:245]
	v_add_f64_e32 v[40:41], v[248:249], v[18:19]
	v_fma_f64 v[32:33], v[32:33], -0.5, v[248:249]
	s_delay_alu instid0(VALU_DEP_2) | instskip(SKIP_2) | instid1(VALU_DEP_4)
	v_add_f64_e32 v[18:19], v[40:41], v[222:223]
	v_add_f64_e32 v[40:41], v[46:47], v[20:21]
	v_add_f64_e64 v[20:21], v[20:21], -v[16:17]
	v_fma_f64 v[46:47], v[38:39], s[14:15], v[32:33]
	s_delay_alu instid0(VALU_DEP_4) | instskip(NEXT) | instid1(VALU_DEP_4)
	v_add_f64_e32 v[16:17], v[18:19], v[220:221]
	v_add_f64_e32 v[18:19], v[40:41], v[22:23]
	v_add_f64_e64 v[40:41], v[220:221], -v[244:245]
	v_add_f64_e64 v[22:23], v[22:23], -v[246:247]
	v_fma_f64 v[32:33], v[38:39], s[12:13], v[32:33]
	v_fma_f64 v[38:39], v[44:45], s[12:13], v[34:35]
	;; [unrolled: 1-line block ×3, first 2 shown]
	ds_load_b128 v[220:223], v24 offset:3584
	v_add_f64_e32 v[16:17], v[16:17], v[244:245]
	v_add_f64_e32 v[18:19], v[18:19], v[246:247]
	;; [unrolled: 1-line block ×4, first 2 shown]
	v_fma_f64 v[32:33], v[36:37], s[10:11], v[32:33]
	v_fma_f64 v[20:21], v[36:37], s[2:3], v[46:47]
	;; [unrolled: 1-line block ×3, first 2 shown]
	v_add_f64_e64 v[36:37], v[10:11], -v[14:15]
	v_fma_f64 v[22:23], v[42:43], s[10:11], v[38:39]
	v_add_f64_e32 v[38:39], v[2:3], v[14:15]
	v_add_f64_e64 v[46:47], v[4:5], -v[8:9]
	v_add_f64_e64 v[42:43], v[2:3], -v[14:15]
	v_add_f64_e64 v[48:49], v[0:1], -v[12:13]
	v_fma_f64 v[244:245], v[40:41], s[18:19], v[32:33]
	v_add_f64_e64 v[32:33], v[4:5], -v[0:1]
	v_fma_f64 v[246:247], v[44:45], s[18:19], v[34:35]
	v_add_f64_e64 v[34:35], v[8:9], -v[12:13]
	v_fma_f64 v[20:21], v[40:41], s[18:19], v[20:21]
	s_wait_dscnt 0x0
	v_fma_f64 v[38:39], v[38:39], -0.5, v[222:223]
	v_add_f64_e64 v[40:41], v[6:7], -v[10:11]
	v_fma_f64 v[22:23], v[44:45], s[18:19], v[22:23]
	v_add_f64_e32 v[32:33], v[32:33], v[34:35]
	v_add_f64_e64 v[34:35], v[6:7], -v[2:3]
	v_fma_f64 v[50:51], v[46:47], s[12:13], v[38:39]
	v_fma_f64 v[38:39], v[46:47], s[14:15], v[38:39]
	s_delay_alu instid0(VALU_DEP_3) | instskip(SKIP_1) | instid1(VALU_DEP_4)
	v_add_f64_e32 v[34:35], v[34:35], v[36:37]
	v_add_f64_e32 v[36:37], v[0:1], v[12:13]
	v_fma_f64 v[50:51], v[48:49], s[10:11], v[50:51]
	s_delay_alu instid0(VALU_DEP_4) | instskip(NEXT) | instid1(VALU_DEP_3)
	v_fma_f64 v[38:39], v[48:49], s[2:3], v[38:39]
	v_fma_f64 v[36:37], v[36:37], -0.5, v[220:221]
	s_delay_alu instid0(VALU_DEP_3) | instskip(SKIP_1) | instid1(VALU_DEP_4)
	v_fma_f64 v[250:251], v[34:35], s[18:19], v[50:51]
	v_add_f64_e32 v[50:51], v[222:223], v[2:3]
	v_fma_f64 v[34:35], v[34:35], s[18:19], v[38:39]
	v_add_f64_e32 v[38:39], v[6:7], v[10:11]
	v_fma_f64 v[44:45], v[40:41], s[14:15], v[36:37]
	v_fma_f64 v[36:37], v[40:41], s[12:13], v[36:37]
	s_delay_alu instid0(VALU_DEP_3) | instskip(NEXT) | instid1(VALU_DEP_3)
	v_fma_f64 v[38:39], v[38:39], -0.5, v[222:223]
	v_fma_f64 v[44:45], v[42:43], s[2:3], v[44:45]
	s_delay_alu instid0(VALU_DEP_3) | instskip(NEXT) | instid1(VALU_DEP_2)
	v_fma_f64 v[36:37], v[42:43], s[10:11], v[36:37]
	v_fma_f64 v[248:249], v[32:33], s[18:19], v[44:45]
	v_add_f64_e32 v[44:45], v[220:221], v[0:1]
	s_delay_alu instid0(VALU_DEP_3) | instskip(SKIP_1) | instid1(VALU_DEP_3)
	v_fma_f64 v[32:33], v[32:33], s[18:19], v[36:37]
	v_add_f64_e32 v[36:37], v[4:5], v[8:9]
	v_add_f64_e32 v[0:1], v[44:45], v[4:5]
	;; [unrolled: 1-line block ×3, first 2 shown]
	s_delay_alu instid0(VALU_DEP_3) | instskip(SKIP_1) | instid1(VALU_DEP_4)
	v_fma_f64 v[36:37], v[36:37], -0.5, v[220:221]
	v_add_f64_e64 v[6:7], v[2:3], -v[6:7]
	v_add_f64_e32 v[0:1], v[0:1], v[8:9]
	s_delay_alu instid0(VALU_DEP_4)
	v_add_f64_e32 v[2:3], v[4:5], v[10:11]
	v_add_f64_e64 v[4:5], v[12:13], -v[8:9]
	v_add_f64_e64 v[8:9], v[14:15], -v[10:11]
	v_fma_f64 v[10:11], v[42:43], s[12:13], v[36:37]
	v_add_f64_e32 v[0:1], v[0:1], v[12:13]
	v_add_f64_e32 v[2:3], v[2:3], v[14:15]
	v_fma_f64 v[14:15], v[48:49], s[14:15], v[38:39]
	v_fma_f64 v[12:13], v[42:43], s[14:15], v[36:37]
	;; [unrolled: 1-line block ×3, first 2 shown]
	v_add_f64_e32 v[38:39], v[52:53], v[4:5]
	v_add_f64_e32 v[8:9], v[6:7], v[8:9]
	v_fma_f64 v[4:5], v[40:41], s[2:3], v[10:11]
	v_fma_f64 v[6:7], v[46:47], s[10:11], v[14:15]
	v_fma_f64 v[10:11], v[40:41], s[10:11], v[12:13]
	v_fma_f64 v[12:13], v[46:47], s[2:3], v[36:37]
	s_add_nc_u64 s[2:3], s[16:17], 0x6900
	s_delay_alu instid0(VALU_DEP_4) | instskip(NEXT) | instid1(VALU_DEP_4)
	v_fma_f64 v[4:5], v[38:39], s[18:19], v[4:5]
	v_fma_f64 v[6:7], v[8:9], s[18:19], v[6:7]
	s_delay_alu instid0(VALU_DEP_4) | instskip(NEXT) | instid1(VALU_DEP_4)
	v_fma_f64 v[220:221], v[38:39], s[18:19], v[10:11]
	v_fma_f64 v[222:223], v[8:9], s[18:19], v[12:13]
	ds_store_b128 v24, v[240:243]
	ds_store_b128 v24, v[16:19] offset:1792
	ds_store_b128 v24, v[0:3] offset:3584
	;; [unrolled: 1-line block ×14, first 2 shown]
	global_wb scope:SCOPE_SE
	s_wait_dscnt 0x0
	s_barrier_signal -1
	s_barrier_wait -1
	global_inv scope:SCOPE_SE
	scratch_load_b64 v[0:1], off, off offset:4 ; 8-byte Folded Reload
	ds_load_b128 v[4:7], v24
	ds_load_b128 v[28:31], v24 offset:5376
	ds_load_b128 v[32:35], v24 offset:18816
	ds_load_b128 v[246:249], v24 offset:20608
	ds_load_b128 v[38:41], v24 offset:22400
	ds_load_b128 v[50:53], v24 offset:24192
	ds_load_b128 v[44:47], v24 offset:10752
	global_load_b128 v[236:239], v24, s[2:3] offset:7168
	ds_load_b128 v[240:243], v24 offset:7168
	ds_load_b128 v[16:19], v24 offset:17024
	;; [unrolled: 1-line block ×3, first 2 shown]
	s_wait_loadcnt 0x1
	global_load_b128 v[0:3], v[0:1], off offset:26880
	s_wait_loadcnt_dscnt 0x9
	v_mul_f64_e32 v[8:9], v[6:7], v[2:3]
	v_mul_f64_e32 v[2:3], v[4:5], v[2:3]
	s_delay_alu instid0(VALU_DEP_2) | instskip(NEXT) | instid1(VALU_DEP_2)
	v_fma_f64 v[224:225], v[4:5], v[0:1], -v[8:9]
	v_fma_f64 v[226:227], v[6:7], v[0:1], v[2:3]
	global_load_b128 v[0:3], v24, s[2:3] offset:13440
	ds_load_b128 v[4:7], v24 offset:13440
	s_wait_loadcnt_dscnt 0x0
	v_mul_f64_e32 v[8:9], v[6:7], v[2:3]
	v_mul_f64_e32 v[2:3], v[4:5], v[2:3]
	s_delay_alu instid0(VALU_DEP_2) | instskip(NEXT) | instid1(VALU_DEP_2)
	v_fma_f64 v[228:229], v[4:5], v[0:1], -v[8:9]
	v_fma_f64 v[230:231], v[6:7], v[0:1], v[2:3]
	global_load_b128 v[0:3], v24, s[2:3] offset:1792
	ds_load_b128 v[4:7], v24 offset:1792
	;; [unrolled: 8-line block ×4, first 2 shown]
	s_wait_loadcnt_dscnt 0x0
	v_mul_f64_e32 v[0:1], v[12:13], v[8:9]
	v_mul_f64_e32 v[14:15], v[10:11], v[8:9]
	s_delay_alu instid0(VALU_DEP_2) | instskip(NEXT) | instid1(VALU_DEP_2)
	v_fma_f64 v[8:9], v[10:11], v[6:7], -v[0:1]
	v_fma_f64 v[10:11], v[12:13], v[6:7], v[14:15]
	global_load_b128 v[12:15], v24, s[2:3] offset:17024
	s_wait_loadcnt 0x0
	v_mul_f64_e32 v[0:1], v[18:19], v[14:15]
	v_mul_f64_e32 v[6:7], v[16:17], v[14:15]
	s_delay_alu instid0(VALU_DEP_2) | instskip(NEXT) | instid1(VALU_DEP_2)
	v_fma_f64 v[14:15], v[16:17], v[12:13], -v[0:1]
	v_fma_f64 v[16:17], v[18:19], v[12:13], v[6:7]
	global_load_b128 v[18:21], v24, s[2:3] offset:5376
	s_wait_loadcnt 0x0
	;; [unrolled: 7-line block ×3, first 2 shown]
	v_mul_f64_e32 v[0:1], v[34:35], v[30:31]
	v_mul_f64_e32 v[6:7], v[32:33], v[30:31]
	s_delay_alu instid0(VALU_DEP_2) | instskip(NEXT) | instid1(VALU_DEP_2)
	v_fma_f64 v[30:31], v[32:33], v[28:29], -v[0:1]
	v_fma_f64 v[32:33], v[34:35], v[28:29], v[6:7]
	v_mul_f64_e32 v[0:1], v[242:243], v[238:239]
	v_mul_f64_e32 v[6:7], v[240:241], v[238:239]
	global_load_b128 v[34:37], v24, s[2:3] offset:22400
	v_fma_f64 v[238:239], v[240:241], v[236:237], -v[0:1]
	v_fma_f64 v[240:241], v[242:243], v[236:237], v[6:7]
	global_load_b128 v[242:245], v24, s[2:3] offset:20608
	s_wait_loadcnt 0x0
	v_mul_f64_e32 v[0:1], v[248:249], v[244:245]
	v_mul_f64_e32 v[6:7], v[246:247], v[244:245]
	s_delay_alu instid0(VALU_DEP_2) | instskip(NEXT) | instid1(VALU_DEP_2)
	v_fma_f64 v[244:245], v[246:247], v[242:243], -v[0:1]
	v_fma_f64 v[246:247], v[248:249], v[242:243], v[6:7]
	global_load_b128 v[248:251], v24, s[2:3] offset:8960
	s_wait_loadcnt 0x0
	v_mul_f64_e32 v[0:1], v[254:255], v[250:251]
	v_mul_f64_e32 v[6:7], v[252:253], v[250:251]
	s_delay_alu instid0(VALU_DEP_2) | instskip(NEXT) | instid1(VALU_DEP_2)
	v_fma_f64 v[250:251], v[252:253], v[248:249], -v[0:1]
	v_fma_f64 v[252:253], v[254:255], v[248:249], v[6:7]
	v_mul_f64_e32 v[0:1], v[40:41], v[36:37]
	v_mul_f64_e32 v[6:7], v[38:39], v[36:37]
	s_delay_alu instid0(VALU_DEP_2) | instskip(NEXT) | instid1(VALU_DEP_2)
	v_fma_f64 v[36:37], v[38:39], v[34:35], -v[0:1]
	v_fma_f64 v[38:39], v[40:41], v[34:35], v[6:7]
	global_load_b128 v[40:43], v24, s[2:3] offset:10752
	s_wait_loadcnt 0x0
	v_mul_f64_e32 v[0:1], v[46:47], v[42:43]
	v_mul_f64_e32 v[6:7], v[44:45], v[42:43]
	s_delay_alu instid0(VALU_DEP_2) | instskip(NEXT) | instid1(VALU_DEP_2)
	v_fma_f64 v[42:43], v[44:45], v[40:41], -v[0:1]
	v_fma_f64 v[44:45], v[46:47], v[40:41], v[6:7]
	global_load_b128 v[46:49], v24, s[2:3] offset:24192
	s_wait_loadcnt 0x0
	v_mul_f64_e32 v[0:1], v[52:53], v[48:49]
	v_mul_f64_e32 v[6:7], v[50:51], v[48:49]
	s_delay_alu instid0(VALU_DEP_2) | instskip(NEXT) | instid1(VALU_DEP_2)
	v_fma_f64 v[48:49], v[50:51], v[46:47], -v[0:1]
	v_fma_f64 v[50:51], v[52:53], v[46:47], v[6:7]
	ds_store_b128 v24, v[224:227]
	ds_store_b128 v24, v[228:231] offset:13440
	ds_store_b128 v24, v[232:235] offset:1792
	;; [unrolled: 1-line block ×13, first 2 shown]
	s_and_saveexec_b32 s1, vcc_lo
	s_cbranch_execz .LBB0_25
; %bb.24:
	s_wait_alu 0xfffe
	v_add_co_u32 v4, s2, s2, v24
	s_wait_alu 0xf1ff
	v_add_co_ci_u32_e64 v5, null, s3, 0, s2
	s_clause 0x1
	global_load_b128 v[0:3], v[4:5], off offset:12544
	global_load_b128 v[4:7], v[4:5], off offset:25984
	ds_load_b128 v[8:11], v24 offset:12544
	ds_load_b128 v[12:15], v24 offset:25984
	s_wait_loadcnt_dscnt 0x101
	v_mul_f64_e32 v[16:17], v[10:11], v[2:3]
	v_mul_f64_e32 v[2:3], v[8:9], v[2:3]
	s_wait_loadcnt_dscnt 0x0
	v_mul_f64_e32 v[18:19], v[14:15], v[6:7]
	v_mul_f64_e32 v[20:21], v[12:13], v[6:7]
	s_delay_alu instid0(VALU_DEP_4) | instskip(NEXT) | instid1(VALU_DEP_4)
	v_fma_f64 v[6:7], v[8:9], v[0:1], -v[16:17]
	v_fma_f64 v[8:9], v[10:11], v[0:1], v[2:3]
	s_delay_alu instid0(VALU_DEP_4) | instskip(NEXT) | instid1(VALU_DEP_4)
	v_fma_f64 v[0:1], v[12:13], v[4:5], -v[18:19]
	v_fma_f64 v[2:3], v[14:15], v[4:5], v[20:21]
	ds_store_b128 v24, v[6:9] offset:12544
	ds_store_b128 v24, v[0:3] offset:25984
.LBB0_25:
	s_wait_alu 0xfffe
	s_or_b32 exec_lo, exec_lo, s1
	global_wb scope:SCOPE_SE
	s_wait_dscnt 0x0
	s_barrier_signal -1
	s_barrier_wait -1
	global_inv scope:SCOPE_SE
	ds_load_b128 v[16:19], v24
	ds_load_b128 v[8:11], v24 offset:1792
	ds_load_b128 v[12:15], v24 offset:15232
	;; [unrolled: 1-line block ×13, first 2 shown]
	s_and_saveexec_b32 s1, vcc_lo
	s_cbranch_execz .LBB0_27
; %bb.26:
	ds_load_b128 v[220:223], v24 offset:12544
	ds_load_b128 v[216:219], v24 offset:25984
.LBB0_27:
	s_wait_alu 0xfffe
	s_or_b32 exec_lo, exec_lo, s1
	s_wait_dscnt 0x3
	v_add_f64_e64 v[20:21], v[16:17], -v[20:21]
	v_add_f64_e64 v[22:23], v[18:19], -v[22:23]
	v_lshlrev_b32_e32 v28, 5, v25
	global_wb scope:SCOPE_SE
	s_wait_dscnt 0x0
	s_barrier_signal -1
	s_barrier_wait -1
	global_inv scope:SCOPE_SE
	v_add_f64_e64 v[12:13], v[8:9], -v[12:13]
	v_add_f64_e64 v[14:15], v[10:11], -v[14:15]
	;; [unrolled: 1-line block ×4, first 2 shown]
	v_fma_f64 v[16:17], v[16:17], 2.0, -v[20:21]
	v_fma_f64 v[18:19], v[18:19], 2.0, -v[22:23]
	ds_store_b128 v28, v[20:23] offset:16
	ds_store_b128 v28, v[16:19]
	scratch_load_b32 v16, off, off offset:256 th:TH_LOAD_LU ; 4-byte Folded Reload
	v_fma_f64 v[8:9], v[8:9], 2.0, -v[12:13]
	v_fma_f64 v[10:11], v[10:11], 2.0, -v[14:15]
	;; [unrolled: 1-line block ×4, first 2 shown]
	s_wait_loadcnt 0x0
	ds_store_b128 v16, v[8:11]
	ds_store_b128 v16, v[12:15] offset:16
	scratch_load_b32 v8, off, off offset:252 th:TH_LOAD_LU ; 4-byte Folded Reload
	v_add_f64_e64 v[10:11], v[226:227], -v[246:247]
	v_add_f64_e64 v[12:13], v[232:233], -v[240:241]
	;; [unrolled: 1-line block ×3, first 2 shown]
	s_wait_loadcnt 0x0
	ds_store_b128 v8, v[0:3]
	ds_store_b128 v8, v[4:7] offset:16
	scratch_load_b32 v8, off, off offset:248 th:TH_LOAD_LU ; 4-byte Folded Reload
	v_add_f64_e64 v[0:1], v[248:249], -v[252:253]
	v_add_f64_e64 v[2:3], v[250:251], -v[254:255]
	v_fma_f64 v[22:23], v[226:227], 2.0, -v[10:11]
	v_fma_f64 v[28:29], v[232:233], 2.0, -v[12:13]
	;; [unrolled: 1-line block ×5, first 2 shown]
	s_wait_loadcnt 0x0
	ds_store_b128 v8, v[4:7]
	ds_store_b128 v8, v[0:3] offset:16
	scratch_load_b32 v32, off, off offset:264 th:TH_LOAD_LU ; 4-byte Folded Reload
	v_add_f64_e64 v[4:5], v[228:229], -v[236:237]
	v_add_f64_e64 v[6:7], v[230:231], -v[238:239]
	;; [unrolled: 1-line block ×5, first 2 shown]
	v_fma_f64 v[16:17], v[228:229], 2.0, -v[4:5]
	v_fma_f64 v[18:19], v[230:231], 2.0, -v[6:7]
	;; [unrolled: 1-line block ×5, first 2 shown]
	s_wait_loadcnt 0x0
	ds_store_b128 v32, v[16:19]
	ds_store_b128 v32, v[4:7] offset:16
	scratch_load_b32 v4, off, off offset:272 th:TH_LOAD_LU ; 4-byte Folded Reload
	s_wait_loadcnt 0x0
	ds_store_b128 v4, v[20:23]
	ds_store_b128 v4, v[8:11] offset:16
	scratch_load_b32 v4, off, off offset:260 th:TH_LOAD_LU ; 4-byte Folded Reload
	s_wait_loadcnt 0x0
	ds_store_b128 v4, v[28:31]
	ds_store_b128 v4, v[12:15] offset:16
	s_and_saveexec_b32 s1, vcc_lo
	s_cbranch_execz .LBB0_29
; %bb.28:
	scratch_load_b32 v4, off, off offset:376 th:TH_LOAD_LU ; 4-byte Folded Reload
	s_wait_loadcnt 0x0
	ds_store_b128 v4, v[216:219]
	ds_store_b128 v4, v[0:3] offset:16
.LBB0_29:
	s_wait_alu 0xfffe
	s_or_b32 exec_lo, exec_lo, s1
	global_wb scope:SCOPE_SE
	s_wait_dscnt 0x0
	s_barrier_signal -1
	s_barrier_wait -1
	global_inv scope:SCOPE_SE
	ds_load_b128 v[244:247], v24
	ds_load_b128 v[240:243], v24 offset:1792
	ds_load_b128 v[252:255], v24 offset:15232
	;; [unrolled: 1-line block ×13, first 2 shown]
	s_and_saveexec_b32 s1, vcc_lo
	s_cbranch_execz .LBB0_31
; %bb.30:
	ds_load_b128 v[216:219], v24 offset:12544
	ds_load_b128 v[0:3], v24 offset:25984
.LBB0_31:
	s_wait_alu 0xfffe
	s_or_b32 exec_lo, exec_lo, s1
	s_wait_dscnt 0x7
	v_mul_f64_e32 v[36:37], v[90:91], v[14:15]
	global_wb scope:SCOPE_SE
	s_wait_dscnt 0x0
	s_barrier_signal -1
	s_barrier_wait -1
	global_inv scope:SCOPE_SE
	v_mul_f64_e32 v[28:29], v[90:91], v[22:23]
	v_mul_f64_e32 v[30:31], v[90:91], v[252:253]
	v_mul_f64_e32 v[32:33], v[90:91], v[250:251]
	v_mul_f64_e32 v[34:35], v[90:91], v[248:249]
	v_fma_f64 v[36:37], v[88:89], v[12:13], v[36:37]
	v_mul_f64_e32 v[12:13], v[90:91], v[12:13]
	v_fma_f64 v[28:29], v[88:89], v[20:21], v[28:29]
	v_mul_f64_e32 v[20:21], v[90:91], v[20:21]
	v_fma_f64 v[30:31], v[88:89], v[254:255], -v[30:31]
	v_fma_f64 v[32:33], v[88:89], v[248:249], v[32:33]
	v_fma_f64 v[34:35], v[88:89], v[250:251], -v[34:35]
	v_fma_f64 v[12:13], v[88:89], v[14:15], -v[12:13]
	v_mul_f64_e32 v[14:15], v[90:91], v[10:11]
	v_fma_f64 v[20:21], v[88:89], v[22:23], -v[20:21]
	v_mul_f64_e32 v[22:23], v[90:91], v[254:255]
	s_delay_alu instid0(VALU_DEP_3) | instskip(SKIP_1) | instid1(VALU_DEP_3)
	v_fma_f64 v[14:15], v[88:89], v[8:9], v[14:15]
	v_mul_f64_e32 v[8:9], v[90:91], v[8:9]
	v_fma_f64 v[22:23], v[88:89], v[252:253], v[22:23]
	s_delay_alu instid0(VALU_DEP_2) | instskip(SKIP_1) | instid1(VALU_DEP_1)
	v_fma_f64 v[8:9], v[88:89], v[10:11], -v[8:9]
	v_mul_f64_e32 v[10:11], v[90:91], v[18:19]
	v_fma_f64 v[38:39], v[88:89], v[16:17], v[10:11]
	v_mul_f64_e32 v[10:11], v[90:91], v[16:17]
	s_delay_alu instid0(VALU_DEP_1) | instskip(SKIP_1) | instid1(VALU_DEP_1)
	v_fma_f64 v[16:17], v[88:89], v[18:19], -v[10:11]
	v_mul_f64_e32 v[10:11], v[90:91], v[6:7]
	v_fma_f64 v[40:41], v[88:89], v[4:5], v[10:11]
	scratch_load_b32 v10, off, off offset:364 th:TH_LOAD_LU ; 4-byte Folded Reload
	v_mul_f64_e32 v[4:5], v[90:91], v[4:5]
	s_delay_alu instid0(VALU_DEP_1) | instskip(SKIP_1) | instid1(VALU_DEP_1)
	v_fma_f64 v[42:43], v[88:89], v[6:7], -v[4:5]
	v_mul_f64_e32 v[4:5], v[90:91], v[2:3]
	v_fma_f64 v[44:45], v[88:89], v[0:1], v[4:5]
	v_mul_f64_e32 v[0:1], v[90:91], v[0:1]
	s_delay_alu instid0(VALU_DEP_1) | instskip(SKIP_3) | instid1(VALU_DEP_3)
	v_fma_f64 v[46:47], v[88:89], v[2:3], -v[0:1]
	v_add_f64_e64 v[0:1], v[244:245], -v[28:29]
	v_add_f64_e64 v[2:3], v[246:247], -v[20:21]
	;; [unrolled: 1-line block ×3, first 2 shown]
	v_fma_f64 v[4:5], v[244:245], 2.0, -v[0:1]
	s_delay_alu instid0(VALU_DEP_3) | instskip(NEXT) | instid1(VALU_DEP_3)
	v_fma_f64 v[6:7], v[246:247], 2.0, -v[2:3]
	v_fma_f64 v[28:29], v[220:221], 2.0, -v[20:21]
	s_wait_loadcnt 0x0
	ds_store_b128 v10, v[0:3] offset:32
	ds_store_b128 v10, v[4:7]
	scratch_load_b32 v10, off, off offset:352 th:TH_LOAD_LU ; 4-byte Folded Reload
	v_add_f64_e64 v[0:1], v[240:241], -v[22:23]
	v_add_f64_e64 v[2:3], v[242:243], -v[30:31]
	;; [unrolled: 1-line block ×3, first 2 shown]
	s_delay_alu instid0(VALU_DEP_3) | instskip(NEXT) | instid1(VALU_DEP_3)
	v_fma_f64 v[4:5], v[240:241], 2.0, -v[0:1]
	v_fma_f64 v[6:7], v[242:243], 2.0, -v[2:3]
	s_delay_alu instid0(VALU_DEP_3)
	v_fma_f64 v[30:31], v[222:223], 2.0, -v[22:23]
	s_wait_loadcnt 0x0
	ds_store_b128 v10, v[4:7]
	ds_store_b128 v10, v[0:3] offset:32
	scratch_load_b32 v10, off, off offset:336 th:TH_LOAD_LU ; 4-byte Folded Reload
	v_add_f64_e64 v[0:1], v[236:237], -v[32:33]
	v_add_f64_e64 v[2:3], v[238:239], -v[34:35]
	s_delay_alu instid0(VALU_DEP_2) | instskip(NEXT) | instid1(VALU_DEP_2)
	v_fma_f64 v[4:5], v[236:237], 2.0, -v[0:1]
	v_fma_f64 v[6:7], v[238:239], 2.0, -v[2:3]
	s_wait_loadcnt 0x0
	ds_store_b128 v10, v[4:7]
	ds_store_b128 v10, v[0:3] offset:32
	scratch_load_b32 v10, off, off offset:324 th:TH_LOAD_LU ; 4-byte Folded Reload
	v_add_f64_e64 v[0:1], v[232:233], -v[36:37]
	v_add_f64_e64 v[2:3], v[234:235], -v[12:13]
	;; [unrolled: 1-line block ×3, first 2 shown]
	s_delay_alu instid0(VALU_DEP_3) | instskip(NEXT) | instid1(VALU_DEP_3)
	v_fma_f64 v[4:5], v[232:233], 2.0, -v[0:1]
	v_fma_f64 v[6:7], v[234:235], 2.0, -v[2:3]
	s_wait_loadcnt 0x0
	ds_store_b128 v10, v[4:7]
	ds_store_b128 v10, v[0:3] offset:32
	scratch_load_b32 v32, off, off offset:312 th:TH_LOAD_LU ; 4-byte Folded Reload
	v_add_f64_e64 v[4:5], v[228:229], -v[14:15]
	v_add_f64_e64 v[6:7], v[230:231], -v[8:9]
	;; [unrolled: 1-line block ×3, first 2 shown]
	v_fma_f64 v[16:17], v[224:225], 2.0, -v[12:13]
	v_add_f64_e64 v[0:1], v[216:217], -v[44:45]
	v_add_f64_e64 v[2:3], v[218:219], -v[46:47]
	v_fma_f64 v[8:9], v[228:229], 2.0, -v[4:5]
	v_fma_f64 v[10:11], v[230:231], 2.0, -v[6:7]
	;; [unrolled: 1-line block ×3, first 2 shown]
	s_wait_loadcnt 0x0
	ds_store_b128 v32, v[8:11]
	ds_store_b128 v32, v[4:7] offset:32
	scratch_load_b32 v4, off, off offset:300 th:TH_LOAD_LU ; 4-byte Folded Reload
	v_fma_f64 v[88:89], v[216:217], 2.0, -v[0:1]
	v_fma_f64 v[90:91], v[218:219], 2.0, -v[2:3]
	s_wait_loadcnt 0x0
	ds_store_b128 v4, v[16:19]
	ds_store_b128 v4, v[12:15] offset:32
	scratch_load_b32 v4, off, off offset:284 th:TH_LOAD_LU ; 4-byte Folded Reload
	s_wait_loadcnt 0x0
	ds_store_b128 v4, v[28:31]
	ds_store_b128 v4, v[20:23] offset:32
	s_and_saveexec_b32 s1, vcc_lo
	s_cbranch_execz .LBB0_33
; %bb.32:
	scratch_load_b32 v4, off, off           ; 4-byte Folded Reload
	v_and_b32_e32 v5, 1, v25
	s_wait_loadcnt 0x0
	s_delay_alu instid0(VALU_DEP_1) | instskip(NEXT) | instid1(VALU_DEP_1)
	v_and_or_b32 v4, 0x6fc, v4, v5
	v_lshlrev_b32_e32 v4, 4, v4
	ds_store_b128 v4, v[88:91]
	ds_store_b128 v4, v[0:3] offset:32
.LBB0_33:
	s_wait_alu 0xfffe
	s_or_b32 exec_lo, exec_lo, s1
	global_wb scope:SCOPE_SE
	s_wait_dscnt 0x0
	s_barrier_signal -1
	s_barrier_wait -1
	global_inv scope:SCOPE_SE
	ds_load_b128 v[240:243], v24
	ds_load_b128 v[236:239], v24 offset:1792
	ds_load_b128 v[248:251], v24 offset:15232
	;; [unrolled: 1-line block ×13, first 2 shown]
	s_and_saveexec_b32 s1, vcc_lo
	s_cbranch_execz .LBB0_35
; %bb.34:
	ds_load_b128 v[88:91], v24 offset:12544
	ds_load_b128 v[0:3], v24 offset:25984
.LBB0_35:
	s_wait_alu 0xfffe
	s_or_b32 exec_lo, exec_lo, s1
	s_wait_dscnt 0x7
	v_mul_f64_e32 v[36:37], v[94:95], v[14:15]
	s_wait_dscnt 0x3
	v_mul_f64_e32 v[28:29], v[94:95], v[22:23]
	global_wb scope:SCOPE_SE
	s_wait_dscnt 0x0
	s_barrier_signal -1
	s_barrier_wait -1
	global_inv scope:SCOPE_SE
	v_mul_f64_e32 v[30:31], v[94:95], v[248:249]
	v_mul_f64_e32 v[32:33], v[94:95], v[246:247]
	;; [unrolled: 1-line block ×3, first 2 shown]
	v_fma_f64 v[36:37], v[92:93], v[12:13], v[36:37]
	v_mul_f64_e32 v[12:13], v[94:95], v[12:13]
	v_fma_f64 v[28:29], v[92:93], v[20:21], v[28:29]
	v_mul_f64_e32 v[20:21], v[94:95], v[20:21]
	v_fma_f64 v[30:31], v[92:93], v[250:251], -v[30:31]
	v_fma_f64 v[32:33], v[92:93], v[244:245], v[32:33]
	v_fma_f64 v[34:35], v[92:93], v[246:247], -v[34:35]
	v_fma_f64 v[12:13], v[92:93], v[14:15], -v[12:13]
	v_mul_f64_e32 v[14:15], v[94:95], v[10:11]
	v_fma_f64 v[20:21], v[92:93], v[22:23], -v[20:21]
	v_mul_f64_e32 v[22:23], v[94:95], v[250:251]
	s_delay_alu instid0(VALU_DEP_3) | instskip(SKIP_1) | instid1(VALU_DEP_3)
	v_fma_f64 v[14:15], v[92:93], v[8:9], v[14:15]
	v_mul_f64_e32 v[8:9], v[94:95], v[8:9]
	v_fma_f64 v[22:23], v[92:93], v[248:249], v[22:23]
	s_delay_alu instid0(VALU_DEP_2) | instskip(SKIP_1) | instid1(VALU_DEP_1)
	v_fma_f64 v[8:9], v[92:93], v[10:11], -v[8:9]
	v_mul_f64_e32 v[10:11], v[94:95], v[18:19]
	v_fma_f64 v[10:11], v[92:93], v[16:17], v[10:11]
	v_mul_f64_e32 v[16:17], v[94:95], v[16:17]
	s_delay_alu instid0(VALU_DEP_1) | instskip(SKIP_1) | instid1(VALU_DEP_1)
	v_fma_f64 v[16:17], v[92:93], v[18:19], -v[16:17]
	v_mul_f64_e32 v[18:19], v[94:95], v[6:7]
	v_fma_f64 v[18:19], v[92:93], v[4:5], v[18:19]
	v_mul_f64_e32 v[4:5], v[94:95], v[4:5]
	s_delay_alu instid0(VALU_DEP_1) | instskip(SKIP_1) | instid1(VALU_DEP_1)
	v_fma_f64 v[38:39], v[92:93], v[6:7], -v[4:5]
	v_mul_f64_e32 v[4:5], v[94:95], v[2:3]
	v_fma_f64 v[40:41], v[92:93], v[0:1], v[4:5]
	v_mul_f64_e32 v[0:1], v[94:95], v[0:1]
	s_delay_alu instid0(VALU_DEP_1) | instskip(SKIP_4) | instid1(VALU_DEP_2)
	v_fma_f64 v[42:43], v[92:93], v[2:3], -v[0:1]
	v_add_f64_e64 v[2:3], v[242:243], -v[20:21]
	scratch_load_b32 v20, off, off offset:356 th:TH_LOAD_LU ; 4-byte Folded Reload
	v_add_f64_e64 v[0:1], v[240:241], -v[28:29]
	v_fma_f64 v[6:7], v[242:243], 2.0, -v[2:3]
	v_fma_f64 v[4:5], v[240:241], 2.0, -v[0:1]
	s_wait_loadcnt 0x0
	ds_store_b128 v20, v[0:3] offset:64
	ds_store_b128 v20, v[4:7]
	scratch_load_b32 v20, off, off offset:344 th:TH_LOAD_LU ; 4-byte Folded Reload
	v_add_f64_e64 v[0:1], v[236:237], -v[22:23]
	v_add_f64_e64 v[2:3], v[238:239], -v[30:31]
	s_delay_alu instid0(VALU_DEP_2) | instskip(NEXT) | instid1(VALU_DEP_2)
	v_fma_f64 v[4:5], v[236:237], 2.0, -v[0:1]
	v_fma_f64 v[6:7], v[238:239], 2.0, -v[2:3]
	s_wait_loadcnt 0x0
	ds_store_b128 v20, v[4:7]
	ds_store_b128 v20, v[0:3] offset:64
	scratch_load_b32 v20, off, off offset:328 th:TH_LOAD_LU ; 4-byte Folded Reload
	v_add_f64_e64 v[0:1], v[232:233], -v[32:33]
	v_add_f64_e64 v[2:3], v[234:235], -v[34:35]
	s_delay_alu instid0(VALU_DEP_2) | instskip(NEXT) | instid1(VALU_DEP_2)
	v_fma_f64 v[4:5], v[232:233], 2.0, -v[0:1]
	v_fma_f64 v[6:7], v[234:235], 2.0, -v[2:3]
	s_wait_loadcnt 0x0
	ds_store_b128 v20, v[4:7]
	ds_store_b128 v20, v[0:3] offset:64
	v_add_f64_e64 v[2:3], v[230:231], -v[12:13]
	scratch_load_b32 v12, off, off offset:316 th:TH_LOAD_LU ; 4-byte Folded Reload
	v_add_f64_e64 v[0:1], v[228:229], -v[36:37]
	v_fma_f64 v[6:7], v[230:231], 2.0, -v[2:3]
	v_add_f64_e64 v[230:231], v[90:91], -v[42:43]
	s_delay_alu instid0(VALU_DEP_3)
	v_fma_f64 v[4:5], v[228:229], 2.0, -v[0:1]
	v_add_f64_e64 v[228:229], v[88:89], -v[40:41]
	s_wait_loadcnt 0x0
	ds_store_b128 v12, v[4:7]
	ds_store_b128 v12, v[0:3] offset:64
	scratch_load_b32 v28, off, off offset:304 th:TH_LOAD_LU ; 4-byte Folded Reload
	v_add_f64_e64 v[0:1], v[224:225], -v[14:15]
	v_add_f64_e64 v[2:3], v[226:227], -v[8:9]
	;; [unrolled: 1-line block ×6, first 2 shown]
	v_fma_f64 v[88:89], v[88:89], 2.0, -v[228:229]
	v_fma_f64 v[90:91], v[90:91], 2.0, -v[230:231]
	;; [unrolled: 1-line block ×8, first 2 shown]
	s_wait_loadcnt 0x0
	ds_store_b128 v28, v[4:7]
	ds_store_b128 v28, v[0:3] offset:64
	scratch_load_b32 v0, off, off offset:288 th:TH_LOAD_LU ; 4-byte Folded Reload
	s_wait_loadcnt 0x0
	ds_store_b128 v0, v[12:15]
	ds_store_b128 v0, v[8:11] offset:64
	scratch_load_b32 v0, off, off offset:276 th:TH_LOAD_LU ; 4-byte Folded Reload
	s_wait_loadcnt 0x0
	ds_store_b128 v0, v[20:23]
	ds_store_b128 v0, v[16:19] offset:64
	s_and_saveexec_b32 s1, vcc_lo
	s_cbranch_execz .LBB0_37
; %bb.36:
	scratch_load_b32 v0, off, off           ; 4-byte Folded Reload
	v_and_b32_e32 v1, 3, v25
	s_wait_loadcnt 0x0
	s_delay_alu instid0(VALU_DEP_1) | instskip(NEXT) | instid1(VALU_DEP_1)
	v_and_or_b32 v0, 0x6f8, v0, v1
	v_lshlrev_b32_e32 v0, 4, v0
	ds_store_b128 v0, v[88:91]
	ds_store_b128 v0, v[228:231] offset:64
.LBB0_37:
	s_wait_alu 0xfffe
	s_or_b32 exec_lo, exec_lo, s1
	global_wb scope:SCOPE_SE
	s_wait_dscnt 0x0
	s_barrier_signal -1
	s_barrier_wait -1
	global_inv scope:SCOPE_SE
	ds_load_b128 v[240:243], v24
	ds_load_b128 v[236:239], v24 offset:1792
	ds_load_b128 v[244:247], v24 offset:15232
	;; [unrolled: 1-line block ×13, first 2 shown]
	s_and_saveexec_b32 s1, vcc_lo
	s_cbranch_execz .LBB0_39
; %bb.38:
	ds_load_b128 v[88:91], v24 offset:12544
	ds_load_b128 v[228:231], v24 offset:25984
.LBB0_39:
	s_wait_alu 0xfffe
	s_or_b32 exec_lo, exec_lo, s1
	s_wait_dscnt 0xa
	v_mul_f64_e32 v[32:33], v[82:83], v[18:19]
	global_wb scope:SCOPE_SE
	s_wait_dscnt 0x0
	s_barrier_signal -1
	s_barrier_wait -1
	global_inv scope:SCOPE_SE
	v_mul_f64_e32 v[28:29], v[82:83], v[22:23]
	v_mul_f64_e32 v[30:31], v[82:83], v[244:245]
	v_fma_f64 v[32:33], v[80:81], v[16:17], v[32:33]
	v_mul_f64_e32 v[16:17], v[82:83], v[16:17]
	s_delay_alu instid0(VALU_DEP_4) | instskip(SKIP_2) | instid1(VALU_DEP_4)
	v_fma_f64 v[28:29], v[80:81], v[20:21], v[28:29]
	v_mul_f64_e32 v[20:21], v[82:83], v[20:21]
	v_fma_f64 v[30:31], v[80:81], v[246:247], -v[30:31]
	v_fma_f64 v[16:17], v[80:81], v[18:19], -v[16:17]
	v_mul_f64_e32 v[18:19], v[82:83], v[10:11]
	s_delay_alu instid0(VALU_DEP_4) | instskip(SKIP_1) | instid1(VALU_DEP_3)
	v_fma_f64 v[20:21], v[80:81], v[22:23], -v[20:21]
	v_mul_f64_e32 v[22:23], v[82:83], v[246:247]
	v_fma_f64 v[18:19], v[80:81], v[8:9], v[18:19]
	v_mul_f64_e32 v[8:9], v[82:83], v[8:9]
	s_delay_alu instid0(VALU_DEP_3) | instskip(NEXT) | instid1(VALU_DEP_2)
	v_fma_f64 v[22:23], v[80:81], v[244:245], v[22:23]
	v_fma_f64 v[8:9], v[80:81], v[10:11], -v[8:9]
	v_mul_f64_e32 v[10:11], v[82:83], v[6:7]
	s_delay_alu instid0(VALU_DEP_1) | instskip(SKIP_1) | instid1(VALU_DEP_1)
	v_fma_f64 v[10:11], v[80:81], v[4:5], v[10:11]
	v_mul_f64_e32 v[4:5], v[82:83], v[4:5]
	v_fma_f64 v[34:35], v[80:81], v[6:7], -v[4:5]
	v_mul_f64_e32 v[4:5], v[82:83], v[14:15]
	s_delay_alu instid0(VALU_DEP_1) | instskip(SKIP_1) | instid1(VALU_DEP_1)
	v_fma_f64 v[36:37], v[80:81], v[12:13], v[4:5]
	v_mul_f64_e32 v[4:5], v[82:83], v[12:13]
	v_fma_f64 v[12:13], v[80:81], v[14:15], -v[4:5]
	scratch_load_b32 v14, off, off offset:360 th:TH_LOAD_LU ; 4-byte Folded Reload
	v_mul_f64_e32 v[4:5], v[82:83], v[2:3]
	s_delay_alu instid0(VALU_DEP_1) | instskip(SKIP_1) | instid1(VALU_DEP_1)
	v_fma_f64 v[38:39], v[80:81], v[0:1], v[4:5]
	v_mul_f64_e32 v[0:1], v[82:83], v[0:1]
	v_fma_f64 v[40:41], v[80:81], v[2:3], -v[0:1]
	v_mul_f64_e32 v[0:1], v[82:83], v[230:231]
	v_add_f64_e64 v[2:3], v[242:243], -v[20:21]
	s_delay_alu instid0(VALU_DEP_2) | instskip(SKIP_1) | instid1(VALU_DEP_3)
	v_fma_f64 v[42:43], v[80:81], v[228:229], v[0:1]
	v_mul_f64_e32 v[0:1], v[82:83], v[228:229]
	v_fma_f64 v[6:7], v[242:243], 2.0, -v[2:3]
	s_delay_alu instid0(VALU_DEP_2) | instskip(SKIP_2) | instid1(VALU_DEP_3)
	v_fma_f64 v[44:45], v[80:81], v[230:231], -v[0:1]
	v_add_f64_e64 v[0:1], v[240:241], -v[28:29]
	v_add_f64_e64 v[80:81], v[88:89], -v[42:43]
	;; [unrolled: 1-line block ×3, first 2 shown]
	s_delay_alu instid0(VALU_DEP_3)
	v_fma_f64 v[4:5], v[240:241], 2.0, -v[0:1]
	s_wait_loadcnt 0x0
	ds_store_b128 v14, v[0:3] offset:128
	ds_store_b128 v14, v[4:7]
	scratch_load_b32 v14, off, off offset:348 th:TH_LOAD_LU ; 4-byte Folded Reload
	v_add_f64_e64 v[0:1], v[236:237], -v[22:23]
	v_add_f64_e64 v[2:3], v[238:239], -v[30:31]
	s_delay_alu instid0(VALU_DEP_2) | instskip(NEXT) | instid1(VALU_DEP_2)
	v_fma_f64 v[4:5], v[236:237], 2.0, -v[0:1]
	v_fma_f64 v[6:7], v[238:239], 2.0, -v[2:3]
	s_wait_loadcnt 0x0
	ds_store_b128 v14, v[4:7]
	ds_store_b128 v14, v[0:3] offset:128
	scratch_load_b32 v14, off, off offset:332 th:TH_LOAD_LU ; 4-byte Folded Reload
	v_add_f64_e64 v[0:1], v[232:233], -v[32:33]
	v_add_f64_e64 v[2:3], v[234:235], -v[16:17]
	;; [unrolled: 1-line block ×3, first 2 shown]
	s_delay_alu instid0(VALU_DEP_3) | instskip(NEXT) | instid1(VALU_DEP_3)
	v_fma_f64 v[4:5], v[232:233], 2.0, -v[0:1]
	v_fma_f64 v[6:7], v[234:235], 2.0, -v[2:3]
	s_delay_alu instid0(VALU_DEP_3)
	v_fma_f64 v[20:21], v[92:93], 2.0, -v[16:17]
	s_wait_loadcnt 0x0
	ds_store_b128 v14, v[4:7]
	ds_store_b128 v14, v[0:3] offset:128
	v_add_f64_e64 v[2:3], v[226:227], -v[8:9]
	scratch_load_b32 v8, off, off offset:320 th:TH_LOAD_LU ; 4-byte Folded Reload
	v_add_f64_e64 v[0:1], v[224:225], -v[18:19]
	v_add_f64_e64 v[18:19], v[94:95], -v[40:41]
	v_fma_f64 v[6:7], v[226:227], 2.0, -v[2:3]
	s_delay_alu instid0(VALU_DEP_3) | instskip(NEXT) | instid1(VALU_DEP_3)
	v_fma_f64 v[4:5], v[224:225], 2.0, -v[0:1]
	v_fma_f64 v[22:23], v[94:95], 2.0, -v[18:19]
	s_wait_loadcnt 0x0
	ds_store_b128 v8, v[4:7]
	ds_store_b128 v8, v[0:3] offset:128
	scratch_load_b32 v28, off, off offset:308 th:TH_LOAD_LU ; 4-byte Folded Reload
	v_add_f64_e64 v[0:1], v[220:221], -v[10:11]
	v_add_f64_e64 v[2:3], v[222:223], -v[34:35]
	;; [unrolled: 1-line block ×4, first 2 shown]
	s_delay_alu instid0(VALU_DEP_4) | instskip(NEXT) | instid1(VALU_DEP_4)
	v_fma_f64 v[4:5], v[220:221], 2.0, -v[0:1]
	v_fma_f64 v[6:7], v[222:223], 2.0, -v[2:3]
	s_delay_alu instid0(VALU_DEP_4) | instskip(NEXT) | instid1(VALU_DEP_4)
	v_fma_f64 v[12:13], v[216:217], 2.0, -v[8:9]
	v_fma_f64 v[14:15], v[218:219], 2.0, -v[10:11]
	s_wait_loadcnt 0x0
	ds_store_b128 v28, v[4:7]
	ds_store_b128 v28, v[0:3] offset:128
	scratch_load_b32 v0, off, off offset:296 th:TH_LOAD_LU ; 4-byte Folded Reload
	s_wait_loadcnt 0x0
	ds_store_b128 v0, v[12:15]
	ds_store_b128 v0, v[8:11] offset:128
	scratch_load_b32 v0, off, off offset:280 th:TH_LOAD_LU ; 4-byte Folded Reload
	s_wait_loadcnt 0x0
	ds_store_b128 v0, v[20:23]
	ds_store_b128 v0, v[16:19] offset:128
	s_and_saveexec_b32 s1, vcc_lo
	s_cbranch_execz .LBB0_41
; %bb.40:
	scratch_load_b32 v4, off, off th:TH_LOAD_LU ; 4-byte Folded Reload
	v_fma_f64 v[2:3], v[90:91], 2.0, -v[82:83]
	v_fma_f64 v[0:1], v[88:89], 2.0, -v[80:81]
	v_and_b32_e32 v5, 7, v25
	s_wait_loadcnt 0x0
	s_delay_alu instid0(VALU_DEP_1) | instskip(NEXT) | instid1(VALU_DEP_1)
	v_and_or_b32 v4, 0x6f0, v4, v5
	v_lshlrev_b32_e32 v4, 4, v4
	ds_store_b128 v4, v[0:3]
	ds_store_b128 v4, v[80:83] offset:128
.LBB0_41:
	s_wait_alu 0xfffe
	s_or_b32 exec_lo, exec_lo, s1
	global_wb scope:SCOPE_SE
	s_wait_dscnt 0x0
	s_barrier_signal -1
	s_barrier_wait -1
	global_inv scope:SCOPE_SE
	ds_load_b128 v[0:3], v24 offset:8960
	ds_load_b128 v[4:7], v24 offset:10752
	;; [unrolled: 1-line block ×3, first 2 shown]
	s_mov_b32 s2, 0xe8584caa
	s_mov_b32 s3, 0xbfebb67a
	;; [unrolled: 1-line block ×3, first 2 shown]
	s_wait_alu 0xfffe
	s_mov_b32 s10, s2
	s_wait_dscnt 0x2
	v_mul_f64_e32 v[12:13], v[98:99], v[2:3]
	v_mul_f64_e32 v[14:15], v[98:99], v[0:1]
	s_wait_dscnt 0x1
	v_mul_f64_e32 v[16:17], v[98:99], v[6:7]
	v_mul_f64_e32 v[18:19], v[98:99], v[4:5]
	s_delay_alu instid0(VALU_DEP_4) | instskip(NEXT) | instid1(VALU_DEP_4)
	v_fma_f64 v[12:13], v[96:97], v[0:1], v[12:13]
	v_fma_f64 v[14:15], v[96:97], v[2:3], -v[14:15]
	ds_load_b128 v[0:3], v24 offset:14336
	v_fma_f64 v[32:33], v[96:97], v[4:5], v[16:17]
	v_fma_f64 v[34:35], v[96:97], v[6:7], -v[18:19]
	s_wait_dscnt 0x1
	v_mul_f64_e32 v[20:21], v[98:99], v[10:11]
	v_mul_f64_e32 v[22:23], v[98:99], v[8:9]
	s_wait_dscnt 0x0
	v_mul_f64_e32 v[4:5], v[98:99], v[2:3]
	v_mul_f64_e32 v[6:7], v[98:99], v[0:1]
	s_delay_alu instid0(VALU_DEP_4) | instskip(NEXT) | instid1(VALU_DEP_4)
	v_fma_f64 v[36:37], v[96:97], v[8:9], v[20:21]
	v_fma_f64 v[38:39], v[96:97], v[10:11], -v[22:23]
	s_delay_alu instid0(VALU_DEP_4) | instskip(NEXT) | instid1(VALU_DEP_4)
	v_fma_f64 v[40:41], v[96:97], v[0:1], v[4:5]
	v_fma_f64 v[42:43], v[96:97], v[2:3], -v[6:7]
	ds_load_b128 v[0:3], v24 offset:16128
	s_wait_dscnt 0x0
	v_mul_f64_e32 v[4:5], v[98:99], v[2:3]
	s_delay_alu instid0(VALU_DEP_1) | instskip(SKIP_1) | instid1(VALU_DEP_1)
	v_fma_f64 v[44:45], v[96:97], v[0:1], v[4:5]
	v_mul_f64_e32 v[0:1], v[98:99], v[0:1]
	v_fma_f64 v[46:47], v[96:97], v[2:3], -v[0:1]
	ds_load_b128 v[0:3], v24 offset:17920
	s_wait_dscnt 0x0
	v_mul_f64_e32 v[4:5], v[86:87], v[2:3]
	s_delay_alu instid0(VALU_DEP_1) | instskip(SKIP_1) | instid1(VALU_DEP_1)
	v_fma_f64 v[4:5], v[84:85], v[0:1], v[4:5]
	v_mul_f64_e32 v[0:1], v[86:87], v[0:1]
	v_fma_f64 v[6:7], v[84:85], v[2:3], -v[0:1]
	ds_load_b128 v[0:3], v24 offset:19712
	s_wait_dscnt 0x0
	v_mul_f64_e32 v[8:9], v[86:87], v[2:3]
	v_add_f64_e32 v[10:11], v[14:15], v[6:7]
	s_delay_alu instid0(VALU_DEP_2) | instskip(SKIP_1) | instid1(VALU_DEP_1)
	v_fma_f64 v[48:49], v[84:85], v[0:1], v[8:9]
	v_mul_f64_e32 v[0:1], v[86:87], v[0:1]
	v_fma_f64 v[50:51], v[84:85], v[2:3], -v[0:1]
	ds_load_b128 v[0:3], v24 offset:21504
	s_wait_dscnt 0x0
	v_mul_f64_e32 v[8:9], v[86:87], v[2:3]
	s_delay_alu instid0(VALU_DEP_1) | instskip(SKIP_1) | instid1(VALU_DEP_1)
	v_fma_f64 v[52:53], v[84:85], v[0:1], v[8:9]
	v_mul_f64_e32 v[0:1], v[86:87], v[0:1]
	v_fma_f64 v[54:55], v[84:85], v[2:3], -v[0:1]
	ds_load_b128 v[0:3], v24 offset:23296
	s_wait_dscnt 0x0
	v_mul_f64_e32 v[8:9], v[86:87], v[2:3]
	s_delay_alu instid0(VALU_DEP_1) | instskip(SKIP_1) | instid1(VALU_DEP_1)
	v_fma_f64 v[88:89], v[84:85], v[0:1], v[8:9]
	v_mul_f64_e32 v[0:1], v[86:87], v[0:1]
	v_fma_f64 v[90:91], v[84:85], v[2:3], -v[0:1]
	ds_load_b128 v[0:3], v24 offset:25088
	s_wait_dscnt 0x0
	v_mul_f64_e32 v[8:9], v[86:87], v[2:3]
	s_delay_alu instid0(VALU_DEP_1) | instskip(SKIP_2) | instid1(VALU_DEP_2)
	v_fma_f64 v[92:93], v[84:85], v[0:1], v[8:9]
	v_mul_f64_e32 v[0:1], v[86:87], v[0:1]
	v_add_f64_e32 v[8:9], v[12:13], v[4:5]
	v_fma_f64 v[84:85], v[84:85], v[2:3], -v[0:1]
	ds_load_b128 v[0:3], v24
	s_wait_dscnt 0x0
	v_fma_f64 v[8:9], v[8:9], -0.5, v[0:1]
	v_fma_f64 v[10:11], v[10:11], -0.5, v[2:3]
	v_add_f64_e32 v[2:3], v[2:3], v[14:15]
	v_add_f64_e32 v[0:1], v[0:1], v[12:13]
	v_add_f64_e64 v[14:15], v[14:15], -v[6:7]
	v_add_f64_e64 v[12:13], v[12:13], -v[4:5]
	s_delay_alu instid0(VALU_DEP_4) | instskip(NEXT) | instid1(VALU_DEP_4)
	v_add_f64_e32 v[2:3], v[2:3], v[6:7]
	v_add_f64_e32 v[0:1], v[0:1], v[4:5]
	s_delay_alu instid0(VALU_DEP_4)
	v_fma_f64 v[4:5], v[14:15], s[2:3], v[8:9]
	s_wait_alu 0xfffe
	v_fma_f64 v[8:9], v[14:15], s[10:11], v[8:9]
	v_fma_f64 v[6:7], v[12:13], s[10:11], v[10:11]
	;; [unrolled: 1-line block ×3, first 2 shown]
	ds_load_b128 v[12:15], v24 offset:7168
	ds_load_b128 v[16:19], v24 offset:1792
	;; [unrolled: 1-line block ×4, first 2 shown]
	global_wb scope:SCOPE_SE
	s_wait_dscnt 0x0
	s_barrier_signal -1
	s_barrier_wait -1
	global_inv scope:SCOPE_SE
	scratch_load_b32 v86, off, off offset:368 th:TH_LOAD_LU ; 4-byte Folded Reload
	s_wait_loadcnt 0x0
	ds_store_b128 v86, v[0:3]
	ds_store_b128 v86, v[4:7] offset:256
	ds_store_b128 v86, v[8:11] offset:512
	v_add_f64_e32 v[0:1], v[32:33], v[48:49]
	v_add_f64_e32 v[4:5], v[16:17], v[32:33]
	v_add_f64_e64 v[8:9], v[34:35], -v[50:51]
	s_delay_alu instid0(VALU_DEP_3) | instskip(SKIP_2) | instid1(VALU_DEP_2)
	v_fma_f64 v[6:7], v[0:1], -0.5, v[16:17]
	v_add_f64_e32 v[0:1], v[34:35], v[50:51]
	v_add_f64_e64 v[16:17], v[32:33], -v[48:49]
	v_fma_f64 v[10:11], v[0:1], -0.5, v[18:19]
	v_add_f64_e32 v[0:1], v[18:19], v[34:35]
	s_delay_alu instid0(VALU_DEP_1)
	v_add_f64_e32 v[2:3], v[0:1], v[50:51]
	v_add_f64_e32 v[0:1], v[4:5], v[48:49]
	v_fma_f64 v[4:5], v[8:9], s[2:3], v[6:7]
	v_fma_f64 v[8:9], v[8:9], s[10:11], v[6:7]
	;; [unrolled: 1-line block ×4, first 2 shown]
	scratch_load_b32 v16, off, off offset:340 th:TH_LOAD_LU ; 4-byte Folded Reload
	s_wait_loadcnt 0x0
	ds_store_b128 v16, v[0:3]
	ds_store_b128 v16, v[4:7] offset:256
	ds_store_b128 v16, v[8:11] offset:512
	v_add_f64_e32 v[0:1], v[36:37], v[52:53]
	v_add_f64_e32 v[4:5], v[20:21], v[36:37]
	v_add_f64_e64 v[8:9], v[38:39], -v[54:55]
	v_add_f64_e64 v[16:17], v[36:37], -v[52:53]
	s_delay_alu instid0(VALU_DEP_4) | instskip(SKIP_2) | instid1(VALU_DEP_2)
	v_fma_f64 v[6:7], v[0:1], -0.5, v[20:21]
	v_add_f64_e32 v[0:1], v[38:39], v[54:55]
	v_add_f64_e32 v[20:21], v[28:29], v[40:41]
	v_fma_f64 v[10:11], v[0:1], -0.5, v[22:23]
	v_add_f64_e32 v[0:1], v[22:23], v[38:39]
	v_add_f64_e64 v[38:39], v[46:47], -v[84:85]
	s_delay_alu instid0(VALU_DEP_2)
	v_add_f64_e32 v[2:3], v[0:1], v[54:55]
	v_add_f64_e32 v[0:1], v[4:5], v[52:53]
	v_fma_f64 v[4:5], v[8:9], s[2:3], v[6:7]
	v_fma_f64 v[8:9], v[8:9], s[10:11], v[6:7]
	;; [unrolled: 1-line block ×4, first 2 shown]
	v_add_f64_e32 v[16:17], v[40:41], v[88:89]
	s_delay_alu instid0(VALU_DEP_1) | instskip(SKIP_2) | instid1(VALU_DEP_2)
	v_fma_f64 v[22:23], v[16:17], -0.5, v[28:29]
	v_add_f64_e32 v[16:17], v[42:43], v[90:91]
	v_add_f64_e64 v[28:29], v[42:43], -v[90:91]
	v_fma_f64 v[32:33], v[16:17], -0.5, v[30:31]
	v_add_f64_e32 v[16:17], v[30:31], v[42:43]
	v_add_f64_e64 v[30:31], v[40:41], -v[88:89]
	v_add_f64_e64 v[40:41], v[44:45], -v[92:93]
	s_delay_alu instid0(VALU_DEP_3)
	v_add_f64_e32 v[18:19], v[16:17], v[90:91]
	v_add_f64_e32 v[16:17], v[20:21], v[88:89]
	v_fma_f64 v[20:21], v[28:29], s[2:3], v[22:23]
	v_fma_f64 v[28:29], v[28:29], s[10:11], v[22:23]
	;; [unrolled: 1-line block ×4, first 2 shown]
	v_add_f64_e32 v[32:33], v[44:45], v[92:93]
	s_delay_alu instid0(VALU_DEP_1) | instskip(SKIP_2) | instid1(VALU_DEP_2)
	v_fma_f64 v[34:35], v[32:33], -0.5, v[12:13]
	v_add_f64_e32 v[32:33], v[46:47], v[84:85]
	v_add_f64_e32 v[12:13], v[12:13], v[44:45]
	v_fma_f64 v[36:37], v[32:33], -0.5, v[14:15]
	v_add_f64_e32 v[14:15], v[14:15], v[46:47]
	v_fma_f64 v[32:33], v[38:39], s[2:3], v[34:35]
	s_delay_alu instid0(VALU_DEP_4) | instskip(NEXT) | instid1(VALU_DEP_4)
	v_add_f64_e32 v[12:13], v[12:13], v[92:93]
	v_fma_f64 v[86:87], v[40:41], s[2:3], v[36:37]
	s_delay_alu instid0(VALU_DEP_4)
	v_add_f64_e32 v[14:15], v[14:15], v[84:85]
	v_fma_f64 v[84:85], v[38:39], s[10:11], v[34:35]
	v_fma_f64 v[34:35], v[40:41], s[10:11], v[36:37]
	scratch_load_b32 v36, off, off offset:292 th:TH_LOAD_LU ; 4-byte Folded Reload
	s_wait_loadcnt 0x0
	ds_store_b128 v36, v[0:3]
	ds_store_b128 v36, v[4:7] offset:256
	ds_store_b128 v36, v[8:11] offset:512
	scratch_load_b32 v0, off, off offset:268 th:TH_LOAD_LU ; 4-byte Folded Reload
	s_wait_loadcnt 0x0
	ds_store_b128 v0, v[16:19]
	ds_store_b128 v0, v[20:23] offset:256
	ds_store_b128 v0, v[28:31] offset:512
	;; [unrolled: 5-line block ×3, first 2 shown]
	global_wb scope:SCOPE_SE
	s_wait_dscnt 0x0
	s_barrier_signal -1
	s_barrier_wait -1
	global_inv scope:SCOPE_SE
	ds_load_b128 v[92:95], v24
	ds_load_b128 v[88:91], v24 offset:1792
	ds_load_b128 v[252:255], v24 offset:3840
	;; [unrolled: 1-line block ×13, first 2 shown]
	s_and_saveexec_b32 s1, s0
	s_cbranch_execz .LBB0_43
; %bb.42:
	ds_load_b128 v[84:87], v24 offset:3584
	ds_load_b128 v[80:83], v24 offset:7424
	;; [unrolled: 1-line block ×7, first 2 shown]
.LBB0_43:
	s_wait_alu 0xfffe
	s_or_b32 exec_lo, exec_lo, s1
	s_wait_dscnt 0xb
	v_mul_f64_e32 v[4:5], v[102:103], v[254:255]
	s_mov_b32 s16, 0xe976ee23
	s_mov_b32 s17, 0x3fe11646
	;; [unrolled: 1-line block ×16, first 2 shown]
	s_wait_alu 0xfffe
	s_mov_b32 s24, s22
	s_mov_b32 s20, s2
	global_wb scope:SCOPE_SE
	s_wait_dscnt 0x0
	s_barrier_signal -1
	s_barrier_wait -1
	global_inv scope:SCOPE_SE
	v_fma_f64 v[8:9], v[100:101], v[252:253], v[4:5]
	v_mul_f64_e32 v[4:5], v[102:103], v[252:253]
	s_delay_alu instid0(VALU_DEP_1) | instskip(SKIP_1) | instid1(VALU_DEP_1)
	v_fma_f64 v[10:11], v[100:101], v[254:255], -v[4:5]
	v_mul_f64_e32 v[4:5], v[106:107], v[250:251]
	v_fma_f64 v[12:13], v[104:105], v[248:249], v[4:5]
	v_mul_f64_e32 v[4:5], v[106:107], v[248:249]
	s_delay_alu instid0(VALU_DEP_1) | instskip(SKIP_1) | instid1(VALU_DEP_1)
	v_fma_f64 v[14:15], v[104:105], v[250:251], -v[4:5]
	v_mul_f64_e32 v[4:5], v[110:111], v[2:3]
	v_fma_f64 v[16:17], v[108:109], v[0:1], v[4:5]
	v_mul_f64_e32 v[0:1], v[110:111], v[0:1]
	s_delay_alu instid0(VALU_DEP_1) | instskip(SKIP_1) | instid1(VALU_DEP_2)
	v_fma_f64 v[18:19], v[108:109], v[2:3], -v[0:1]
	v_mul_f64_e32 v[0:1], v[114:115], v[246:247]
	v_add_f64_e32 v[108:109], v[10:11], v[18:19]
	s_delay_alu instid0(VALU_DEP_2) | instskip(SKIP_2) | instid1(VALU_DEP_3)
	v_fma_f64 v[20:21], v[112:113], v[244:245], v[0:1]
	v_mul_f64_e32 v[0:1], v[114:115], v[244:245]
	v_add_f64_e64 v[18:19], v[10:11], -v[18:19]
	v_add_f64_e32 v[102:103], v[12:13], v[20:21]
	s_delay_alu instid0(VALU_DEP_3) | instskip(SKIP_2) | instid1(VALU_DEP_3)
	v_fma_f64 v[22:23], v[112:113], v[246:247], -v[0:1]
	v_mul_f64_e32 v[0:1], v[118:119], v[238:239]
	v_add_f64_e64 v[12:13], v[12:13], -v[20:21]
	v_add_f64_e32 v[110:111], v[14:15], v[22:23]
	s_delay_alu instid0(VALU_DEP_3) | instskip(SKIP_1) | instid1(VALU_DEP_1)
	v_fma_f64 v[36:37], v[116:117], v[236:237], v[0:1]
	v_mul_f64_e32 v[0:1], v[118:119], v[236:237]
	v_fma_f64 v[38:39], v[116:117], v[238:239], -v[0:1]
	v_mul_f64_e32 v[0:1], v[126:127], v[234:235]
	s_delay_alu instid0(VALU_DEP_1) | instskip(SKIP_1) | instid1(VALU_DEP_1)
	v_fma_f64 v[40:41], v[124:125], v[232:233], v[0:1]
	v_mul_f64_e32 v[0:1], v[126:127], v[232:233]
	v_fma_f64 v[42:43], v[124:125], v[234:235], -v[0:1]
	v_mul_f64_e32 v[0:1], v[130:131], v[242:243]
	s_delay_alu instid0(VALU_DEP_1) | instskip(SKIP_1) | instid1(VALU_DEP_1)
	;; [unrolled: 5-line block ×4, first 2 shown]
	v_fma_f64 v[28:29], v[136:137], v[224:225], v[0:1]
	v_mul_f64_e32 v[0:1], v[138:139], v[224:225]
	v_fma_f64 v[30:31], v[136:137], v[226:227], -v[0:1]
	v_mul_f64_e32 v[0:1], v[142:143], v[222:223]
	s_delay_alu instid0(VALU_DEP_1) | instskip(SKIP_1) | instid1(VALU_DEP_2)
	v_fma_f64 v[32:33], v[140:141], v[220:221], v[0:1]
	v_mul_f64_e32 v[0:1], v[142:143], v[220:221]
	v_add_f64_e32 v[104:105], v[28:29], v[32:33]
	s_delay_alu instid0(VALU_DEP_2) | instskip(SKIP_2) | instid1(VALU_DEP_4)
	v_fma_f64 v[34:35], v[140:141], v[222:223], -v[0:1]
	v_mul_f64_e32 v[0:1], v[122:123], v[218:219]
	v_add_f64_e64 v[20:21], v[32:33], -v[28:29]
	v_add_f64_e64 v[32:33], v[104:105], -v[102:103]
	s_delay_alu instid0(VALU_DEP_4) | instskip(NEXT) | instid1(VALU_DEP_4)
	v_add_f64_e32 v[112:113], v[30:31], v[34:35]
	v_fma_f64 v[52:53], v[120:121], v[216:217], v[0:1]
	v_mul_f64_e32 v[0:1], v[122:123], v[216:217]
	v_add_f64_e32 v[122:123], v[42:43], v[50:51]
	v_add_f64_e64 v[10:11], v[20:21], -v[12:13]
	s_delay_alu instid0(VALU_DEP_3) | instskip(SKIP_3) | instid1(VALU_DEP_3)
	v_fma_f64 v[54:55], v[120:121], v[218:219], -v[0:1]
	v_mul_f64_e32 v[0:1], v[146:147], v[98:99]
	v_add_f64_e32 v[120:121], v[38:39], v[46:47]
	v_add_f64_e64 v[46:47], v[38:39], -v[46:47]
	v_fma_f64 v[100:101], v[144:145], v[96:97], v[0:1]
	v_mul_f64_e32 v[0:1], v[146:147], v[96:97]
	s_delay_alu instid0(VALU_DEP_2) | instskip(NEXT) | instid1(VALU_DEP_2)
	v_add_f64_e32 v[116:117], v[52:53], v[100:101]
	v_fma_f64 v[96:97], v[144:145], v[98:99], -v[0:1]
	v_add_f64_e32 v[98:99], v[8:9], v[16:17]
	v_add_f64_e64 v[16:17], v[8:9], -v[16:17]
	v_add_f64_e64 v[8:9], v[14:15], -v[22:23]
	;; [unrolled: 1-line block ×3, first 2 shown]
	v_add_f64_e32 v[124:125], v[54:55], v[96:97]
	v_add_f64_e32 v[0:1], v[102:103], v[98:99]
	v_add_f64_e64 v[28:29], v[12:13], -v[16:17]
	v_add_f64_e32 v[12:13], v[20:21], v[12:13]
	v_add_f64_e64 v[14:15], v[22:23], -v[8:9]
	v_add_f64_e64 v[30:31], v[8:9], -v[18:19]
	v_add_f64_e32 v[8:9], v[22:23], v[8:9]
	v_add_f64_e64 v[34:35], v[102:103], -v[98:99]
	v_mul_f64_e32 v[102:103], s[16:17], v[10:11]
	v_add_f64_e64 v[98:99], v[98:99], -v[104:105]
	v_add_f64_e32 v[106:107], v[104:105], v[0:1]
	v_add_f64_e32 v[0:1], v[110:111], v[108:109]
	;; [unrolled: 1-line block ×3, first 2 shown]
	v_add_f64_e64 v[104:105], v[108:109], -v[112:113]
	v_add_f64_e32 v[130:131], v[8:9], v[18:19]
	v_mul_f64_e32 v[8:9], s[14:15], v[32:33]
	v_fma_f64 v[12:13], v[28:29], s[10:11], -v[102:103]
	v_add_f64_e32 v[114:115], v[112:113], v[0:1]
	v_add_f64_e32 v[0:1], v[92:93], v[106:107]
	v_add_f64_e32 v[92:93], v[36:37], v[44:45]
	v_add_f64_e64 v[44:45], v[36:37], -v[44:45]
	v_add_f64_e64 v[36:37], v[42:43], -v[50:51]
	v_fma_f64 v[8:9], v[34:35], s[2:3], -v[8:9]
	v_add_f64_e64 v[50:51], v[96:97], -v[54:55]
	v_add_f64_e64 v[96:97], v[122:123], -v[120:121]
	v_add_f64_e32 v[2:3], v[94:95], v[114:115]
	v_add_f64_e32 v[94:95], v[40:41], v[48:49]
	v_fma_f64 v[106:107], v[106:107], s[12:13], v[0:1]
	v_add_f64_e64 v[40:41], v[40:41], -v[48:49]
	v_add_f64_e64 v[48:49], v[100:101], -v[52:53]
	;; [unrolled: 1-line block ×4, first 2 shown]
	v_add_f64_e32 v[36:37], v[50:51], v[36:37]
	v_fma_f64 v[114:115], v[114:115], s[12:13], v[2:3]
	v_add_f64_e32 v[4:5], v[94:95], v[92:93]
	v_add_f64_e32 v[132:133], v[8:9], v[106:107]
	v_add_f64_e64 v[52:53], v[40:41], -v[44:45]
	v_add_f64_e64 v[38:39], v[48:49], -v[40:41]
	v_add_f64_e32 v[40:41], v[48:49], v[40:41]
	v_mul_f64_e32 v[100:101], s[16:17], v[42:43]
	v_add_f64_e32 v[118:119], v[116:117], v[4:5]
	v_add_f64_e32 v[4:5], v[122:123], v[120:121]
	s_delay_alu instid0(VALU_DEP_1) | instskip(NEXT) | instid1(VALU_DEP_3)
	v_add_f64_e32 v[126:127], v[124:125], v[4:5]
	v_add_f64_e32 v[4:5], v[88:89], v[118:119]
	v_add_f64_e64 v[88:89], v[112:113], -v[110:111]
	v_add_f64_e64 v[112:113], v[18:19], -v[22:23]
	v_mul_f64_e32 v[18:19], s[10:11], v[30:31]
	v_add_f64_e32 v[6:7], v[90:91], v[126:127]
	v_add_f64_e64 v[90:91], v[110:111], -v[108:109]
	v_mul_f64_e32 v[110:111], s[16:17], v[14:15]
	v_add_f64_e64 v[108:109], v[16:17], -v[20:21]
	v_mul_f64_e32 v[16:17], s[10:11], v[28:29]
	v_mul_f64_e32 v[28:29], s[26:27], v[98:99]
	;; [unrolled: 1-line block ×3, first 2 shown]
	v_fma_f64 v[14:15], v[128:129], s[18:19], v[12:13]
	s_wait_alu 0xfffe
	v_fma_f64 v[18:19], v[112:113], s[24:25], -v[18:19]
	v_mul_f64_e32 v[98:99], s[16:17], v[38:39]
	v_fma_f64 v[12:13], v[30:31], s[10:11], -v[110:111]
	v_mul_f64_e32 v[30:31], s[26:27], v[104:105]
	v_fma_f64 v[16:17], v[108:109], s[24:25], -v[16:17]
	v_fma_f64 v[20:21], v[34:35], s[20:21], -v[28:29]
	;; [unrolled: 1-line block ×3, first 2 shown]
	v_fma_f64 v[28:29], v[32:33], s[14:15], v[28:29]
	v_add_f64_e32 v[104:105], v[36:37], v[46:47]
	v_fma_f64 v[12:13], v[130:131], s[18:19], v[12:13]
	v_fma_f64 v[22:23], v[90:91], s[20:21], -v[30:31]
	v_fma_f64 v[90:91], v[130:131], s[18:19], v[18:19]
	v_add_f64_e32 v[20:21], v[20:21], v[106:107]
	v_fma_f64 v[34:35], v[128:129], s[18:19], v[16:17]
	v_fma_f64 v[30:31], v[88:89], s[14:15], v[30:31]
	v_add_f64_e32 v[88:89], v[28:29], v[106:107]
	v_fma_f64 v[106:107], v[118:119], s[12:13], v[4:5]
	v_add_f64_e32 v[134:135], v[10:11], v[114:115]
	v_add_f64_e64 v[8:9], v[132:133], -v[12:13]
	v_add_f64_e32 v[22:23], v[22:23], v[114:115]
	v_add_f64_e32 v[12:13], v[12:13], v[132:133]
	;; [unrolled: 1-line block ×3, first 2 shown]
	v_add_f64_e64 v[20:21], v[20:21], -v[90:91]
	v_fma_f64 v[90:91], v[112:113], s[22:23], v[110:111]
	v_add_f64_e32 v[10:11], v[14:15], v[134:135]
	v_add_f64_e64 v[14:15], v[134:135], -v[14:15]
	v_add_f64_e64 v[18:19], v[22:23], -v[34:35]
	v_add_f64_e32 v[22:23], v[34:35], v[22:23]
	v_fma_f64 v[34:35], v[108:109], s[22:23], v[102:103]
	v_add_f64_e32 v[102:103], v[40:41], v[44:45]
	v_fma_f64 v[32:33], v[130:131], s[18:19], v[90:91]
	v_add_f64_e32 v[90:91], v[30:31], v[114:115]
	v_fma_f64 v[40:41], v[52:53], s[10:11], -v[98:99]
	v_fma_f64 v[108:109], v[126:127], s[12:13], v[6:7]
	v_add_f64_e64 v[114:115], v[46:47], -v[50:51]
	v_mul_f64_e32 v[46:47], s[10:11], v[54:55]
	v_fma_f64 v[34:35], v[128:129], s[18:19], v[34:35]
	v_add_f64_e32 v[28:29], v[32:33], v[88:89]
	v_add_f64_e64 v[32:33], v[88:89], -v[32:33]
	v_add_f64_e64 v[88:89], v[116:117], -v[94:95]
	v_fma_f64 v[42:43], v[102:103], s[18:19], v[40:41]
	v_fma_f64 v[40:41], v[54:55], s[10:11], -v[100:101]
	v_fma_f64 v[46:47], v[114:115], s[24:25], -v[46:47]
	v_add_f64_e64 v[30:31], v[90:91], -v[34:35]
	v_add_f64_e32 v[34:35], v[34:35], v[90:91]
	v_add_f64_e64 v[90:91], v[94:95], -v[92:93]
	v_add_f64_e64 v[94:95], v[124:125], -v[122:123]
	v_mul_f64_e32 v[36:37], s[14:15], v[88:89]
	v_add_f64_e64 v[92:93], v[92:93], -v[116:117]
	v_fma_f64 v[40:41], v[104:105], s[18:19], v[40:41]
	s_delay_alu instid0(VALU_DEP_4) | instskip(NEXT) | instid1(VALU_DEP_4)
	v_mul_f64_e32 v[38:39], s[14:15], v[94:95]
	v_fma_f64 v[36:37], v[90:91], s[2:3], -v[36:37]
	s_delay_alu instid0(VALU_DEP_2) | instskip(NEXT) | instid1(VALU_DEP_2)
	v_fma_f64 v[38:39], v[96:97], s[2:3], -v[38:39]
	v_add_f64_e32 v[110:111], v[36:37], v[106:107]
	s_delay_alu instid0(VALU_DEP_2) | instskip(NEXT) | instid1(VALU_DEP_2)
	v_add_f64_e32 v[112:113], v[38:39], v[108:109]
	v_add_f64_e64 v[36:37], v[110:111], -v[40:41]
	v_add_f64_e32 v[40:41], v[40:41], v[110:111]
	v_add_f64_e64 v[110:111], v[120:121], -v[124:125]
	s_delay_alu instid0(VALU_DEP_4)
	v_add_f64_e32 v[38:39], v[42:43], v[112:113]
	v_add_f64_e64 v[42:43], v[112:113], -v[42:43]
	v_add_f64_e64 v[112:113], v[44:45], -v[48:49]
	v_mul_f64_e32 v[44:45], s[10:11], v[52:53]
	v_mul_f64_e32 v[52:53], s[26:27], v[92:93]
	;; [unrolled: 1-line block ×3, first 2 shown]
	v_fma_f64 v[92:93], v[104:105], s[18:19], v[46:47]
	s_delay_alu instid0(VALU_DEP_4) | instskip(NEXT) | instid1(VALU_DEP_4)
	v_fma_f64 v[44:45], v[112:113], s[24:25], -v[44:45]
	v_fma_f64 v[48:49], v[90:91], s[20:21], -v[52:53]
	s_delay_alu instid0(VALU_DEP_4)
	v_fma_f64 v[50:51], v[96:97], s[20:21], -v[54:55]
	v_fma_f64 v[52:53], v[88:89], s[14:15], v[52:53]
	v_fma_f64 v[54:55], v[94:95], s[14:15], v[54:55]
	;; [unrolled: 1-line block ×3, first 2 shown]
	v_add_f64_e32 v[48:49], v[48:49], v[106:107]
	v_add_f64_e32 v[50:51], v[50:51], v[108:109]
	s_delay_alu instid0(VALU_DEP_4) | instskip(NEXT) | instid1(VALU_DEP_3)
	v_add_f64_e32 v[94:95], v[54:55], v[108:109]
	v_add_f64_e32 v[44:45], v[92:93], v[48:49]
	s_delay_alu instid0(VALU_DEP_3) | instskip(SKIP_4) | instid1(VALU_DEP_2)
	v_add_f64_e64 v[46:47], v[50:51], -v[90:91]
	v_add_f64_e64 v[48:49], v[48:49], -v[92:93]
	v_add_f64_e32 v[50:51], v[90:91], v[50:51]
	v_fma_f64 v[90:91], v[112:113], s[22:23], v[98:99]
	v_fma_f64 v[92:93], v[114:115], s[22:23], v[100:101]
	;; [unrolled: 1-line block ×3, first 2 shown]
	s_delay_alu instid0(VALU_DEP_2) | instskip(SKIP_1) | instid1(VALU_DEP_3)
	v_fma_f64 v[88:89], v[104:105], s[18:19], v[92:93]
	v_add_f64_e32 v[92:93], v[52:53], v[106:107]
	v_add_f64_e64 v[54:55], v[94:95], -v[90:91]
	v_add_f64_e32 v[90:91], v[90:91], v[94:95]
	s_delay_alu instid0(VALU_DEP_3)
	v_add_f64_e32 v[52:53], v[88:89], v[92:93]
	v_add_f64_e64 v[88:89], v[92:93], -v[88:89]
	ds_store_b128 v27, v[0:3]
	ds_store_b128 v27, v[28:31] offset:768
	ds_store_b128 v27, v[16:19] offset:1536
	ds_store_b128 v27, v[8:11] offset:2304
	ds_store_b128 v27, v[12:15] offset:3072
	ds_store_b128 v27, v[20:23] offset:3840
	ds_store_b128 v27, v[32:35] offset:4608
	ds_store_b128 v26, v[4:7]
	ds_store_b128 v26, v[52:55] offset:768
	ds_store_b128 v26, v[44:47] offset:1536
	;; [unrolled: 1-line block ×6, first 2 shown]
	s_and_saveexec_b32 s1, s0
	s_cbranch_execz .LBB0_45
; %bb.44:
	v_mul_f64_e32 v[0:1], v[66:67], v[196:197]
	v_mul_f64_e32 v[2:3], v[58:59], v[80:81]
	;; [unrolled: 1-line block ×12, first 2 shown]
	v_fma_f64 v[0:1], v[64:65], v[198:199], -v[0:1]
	v_fma_f64 v[2:3], v[56:57], v[82:83], -v[2:3]
	v_fma_f64 v[4:5], v[68:69], v[178:179], -v[4:5]
	v_fma_f64 v[6:7], v[60:61], v[174:175], -v[6:7]
	v_fma_f64 v[8:9], v[56:57], v[80:81], v[8:9]
	v_fma_f64 v[10:11], v[64:65], v[196:197], v[10:11]
	;; [unrolled: 1-line block ×6, first 2 shown]
	v_fma_f64 v[20:21], v[72:73], v[166:167], -v[20:21]
	v_fma_f64 v[22:23], v[76:77], v[170:171], -v[22:23]
	v_add_f64_e32 v[26:27], v[2:3], v[0:1]
	v_add_f64_e32 v[28:29], v[6:7], v[4:5]
	v_add_f64_e64 v[4:5], v[6:7], -v[4:5]
	v_add_f64_e32 v[30:31], v[8:9], v[10:11]
	v_add_f64_e64 v[8:9], v[8:9], -v[10:11]
	;; [unrolled: 2-line block ×3, first 2 shown]
	v_add_f64_e64 v[34:35], v[16:17], -v[18:19]
	v_add_f64_e32 v[16:17], v[18:19], v[16:17]
	v_add_f64_e32 v[14:15], v[20:21], v[22:23]
	v_add_f64_e64 v[18:19], v[22:23], -v[20:21]
	v_add_f64_e64 v[6:7], v[2:3], -v[0:1]
	v_add_f64_e32 v[10:11], v[28:29], v[26:27]
	v_add_f64_e32 v[0:1], v[32:33], v[30:31]
	v_add_f64_e64 v[36:37], v[12:13], -v[8:9]
	v_add_f64_e64 v[2:3], v[34:35], -v[12:13]
	;; [unrolled: 1-line block ×7, first 2 shown]
	v_add_f64_e32 v[12:13], v[34:35], v[12:13]
	v_add_f64_e32 v[4:5], v[18:19], v[4:5]
	v_add_f64_e64 v[18:19], v[6:7], -v[18:19]
	v_add_f64_e64 v[26:27], v[28:29], -v[26:27]
	;; [unrolled: 1-line block ×3, first 2 shown]
	v_add_f64_e32 v[10:11], v[14:15], v[10:11]
	v_add_f64_e64 v[14:15], v[14:15], -v[28:29]
	v_add_f64_e32 v[42:43], v[16:17], v[0:1]
	v_add_f64_e64 v[16:17], v[16:17], -v[32:33]
	v_mul_f64_e32 v[34:35], s[16:17], v[2:3]
	v_mul_f64_e32 v[22:23], s[26:27], v[22:23]
	;; [unrolled: 1-line block ×6, first 2 shown]
	v_add_f64_e32 v[8:9], v[12:13], v[8:9]
	v_add_f64_e32 v[4:5], v[4:5], v[6:7]
	;; [unrolled: 1-line block ×3, first 2 shown]
	v_mul_f64_e32 v[28:29], s[14:15], v[14:15]
	v_add_f64_e32 v[0:1], v[84:85], v[42:43]
	v_mul_f64_e32 v[32:33], s[14:15], v[16:17]
	v_fma_f64 v[6:7], v[44:45], s[22:23], v[34:35]
	v_fma_f64 v[34:35], v[36:37], s[10:11], -v[34:35]
	v_fma_f64 v[12:13], v[14:15], s[14:15], v[20:21]
	v_fma_f64 v[14:15], v[16:17], s[14:15], v[22:23]
	v_fma_f64 v[16:17], v[44:45], s[24:25], -v[46:47]
	v_fma_f64 v[20:21], v[26:27], s[20:21], -v[20:21]
	;; [unrolled: 1-line block ×4, first 2 shown]
	v_fma_f64 v[10:11], v[10:11], s[12:13], v[2:3]
	v_fma_f64 v[26:27], v[26:27], s[2:3], -v[28:29]
	v_fma_f64 v[28:29], v[18:19], s[22:23], v[38:39]
	v_fma_f64 v[18:19], v[18:19], s[24:25], -v[48:49]
	;; [unrolled: 2-line block ×3, first 2 shown]
	v_fma_f64 v[32:33], v[8:9], s[18:19], v[6:7]
	v_fma_f64 v[16:17], v[8:9], s[18:19], v[16:17]
	;; [unrolled: 1-line block ×3, first 2 shown]
	v_add_f64_e32 v[12:13], v[12:13], v[10:11]
	v_add_f64_e32 v[20:21], v[20:21], v[10:11]
	v_fma_f64 v[34:35], v[4:5], s[18:19], v[28:29]
	v_fma_f64 v[40:41], v[4:5], s[18:19], v[18:19]
	v_fma_f64 v[4:5], v[4:5], s[18:19], v[36:37]
	v_add_f64_e32 v[30:31], v[30:31], v[38:39]
	v_add_f64_e32 v[26:27], v[26:27], v[10:11]
	;; [unrolled: 1-line block ×6, first 2 shown]
	v_add_f64_e64 v[22:23], v[20:21], -v[16:17]
	v_add_f64_e64 v[28:29], v[12:13], -v[32:33]
	;; [unrolled: 1-line block ×3, first 2 shown]
	v_add_f64_e32 v[12:13], v[4:5], v[30:31]
	scratch_load_b32 v30, off, off offset:372 th:TH_LOAD_LU ; 4-byte Folded Reload
	v_add_f64_e64 v[14:15], v[26:27], -v[8:9]
	v_add_f64_e32 v[18:19], v[8:9], v[26:27]
	v_add_f64_e32 v[26:27], v[34:35], v[36:37]
	v_add_f64_e32 v[20:21], v[40:41], v[42:43]
	v_add_f64_e64 v[8:9], v[42:43], -v[40:41]
	v_add_f64_e64 v[4:5], v[36:37], -v[34:35]
	s_wait_loadcnt 0x0
	v_lshlrev_b32_e32 v30, 4, v30
	ds_store_b128 v30, v[0:3] offset:21504
	ds_store_b128 v30, v[26:29] offset:22272
	;; [unrolled: 1-line block ×7, first 2 shown]
.LBB0_45:
	s_wait_alu 0xfffe
	s_or_b32 exec_lo, exec_lo, s1
	global_wb scope:SCOPE_SE
	s_wait_dscnt 0x0
	s_barrier_signal -1
	s_barrier_wait -1
	global_inv scope:SCOPE_SE
	ds_load_b128 v[0:3], v24 offset:5376
	ds_load_b128 v[4:7], v24 offset:10752
	;; [unrolled: 1-line block ×13, first 2 shown]
	s_mov_b32 s10, 0x134454ff
	s_mov_b32 s11, 0xbfee6f0e
	;; [unrolled: 1-line block ×3, first 2 shown]
	s_wait_alu 0xfffe
	s_mov_b32 s12, s10
	s_mov_b32 s0, 0x4755a5e
	;; [unrolled: 1-line block ×4, first 2 shown]
	s_wait_dscnt 0xc
	v_mul_f64_e32 v[54:55], v[158:159], v[2:3]
	s_wait_dscnt 0xb
	v_mul_f64_e32 v[58:59], v[154:155], v[6:7]
	;; [unrolled: 2-line block ×3, first 2 shown]
	v_mul_f64_e32 v[56:57], v[158:159], v[0:1]
	s_wait_dscnt 0x8
	v_mul_f64_e32 v[70:71], v[182:183], v[18:19]
	s_wait_dscnt 0x7
	;; [unrolled: 2-line block ×4, first 2 shown]
	v_mul_f64_e32 v[82:83], v[194:195], v[32:33]
	v_mul_f64_e32 v[60:61], v[154:155], v[4:5]
	;; [unrolled: 1-line block ×9, first 2 shown]
	s_wait_dscnt 0x3
	v_mul_f64_e32 v[86:87], v[202:203], v[40:41]
	v_mul_f64_e32 v[88:89], v[202:203], v[38:39]
	s_wait_dscnt 0x2
	v_mul_f64_e32 v[90:91], v[206:207], v[44:45]
	v_mul_f64_e32 v[92:93], v[206:207], v[42:43]
	;; [unrolled: 3-line block ×4, first 2 shown]
	s_wait_alu 0xfffe
	s_mov_b32 s2, s0
	v_fma_f64 v[54:55], v[156:157], v[0:1], v[54:55]
	v_fma_f64 v[58:59], v[152:153], v[4:5], v[58:59]
	;; [unrolled: 1-line block ×3, first 2 shown]
	v_fma_f64 v[56:57], v[156:157], v[2:3], -v[56:57]
	v_fma_f64 v[16:17], v[180:181], v[16:17], v[70:71]
	v_fma_f64 v[20:21], v[184:185], v[20:21], v[74:75]
	;; [unrolled: 1-line block ×4, first 2 shown]
	v_fma_f64 v[60:61], v[152:153], v[6:7], -v[60:61]
	v_fma_f64 v[10:11], v[148:149], v[10:11], -v[64:65]
	v_fma_f64 v[12:13], v[160:161], v[12:13], v[66:67]
	v_fma_f64 v[14:15], v[160:161], v[14:15], -v[68:69]
	v_fma_f64 v[18:19], v[180:181], v[18:19], -v[72:73]
	;; [unrolled: 1-line block ×5, first 2 shown]
	v_fma_f64 v[38:39], v[200:201], v[38:39], v[86:87]
	v_fma_f64 v[40:41], v[200:201], v[40:41], -v[88:89]
	v_fma_f64 v[42:43], v[204:205], v[42:43], v[90:91]
	v_fma_f64 v[44:45], v[204:205], v[44:45], -v[92:93]
	;; [unrolled: 2-line block ×4, first 2 shown]
	ds_load_b128 v[0:3], v24
	ds_load_b128 v[4:7], v24 offset:1792
	v_add_f64_e64 v[76:77], v[54:55], -v[58:59]
	v_add_f64_e32 v[62:63], v[58:59], v[8:9]
	v_add_f64_e64 v[84:85], v[58:59], -v[54:55]
	v_add_f64_e64 v[102:103], v[58:59], -v[8:9]
	;; [unrolled: 1-line block ×3, first 2 shown]
	v_add_f64_e32 v[78:79], v[20:21], v[26:27]
	v_add_f64_e32 v[82:83], v[16:17], v[30:31]
	s_wait_dscnt 0x1
	v_add_f64_e32 v[64:65], v[0:1], v[54:55]
	v_add_f64_e32 v[70:71], v[60:61], v[10:11]
	;; [unrolled: 1-line block ×4, first 2 shown]
	v_add_f64_e64 v[68:69], v[56:57], -v[14:15]
	v_add_f64_e64 v[80:81], v[12:13], -v[8:9]
	v_add_f64_e32 v[88:89], v[22:23], v[28:29]
	v_add_f64_e32 v[86:87], v[18:19], v[32:33]
	v_add_f64_e64 v[90:91], v[8:9], -v[12:13]
	v_add_f64_e32 v[92:93], v[2:3], v[56:57]
	v_add_f64_e64 v[104:105], v[56:57], -v[60:61]
	v_add_f64_e64 v[56:57], v[60:61], -v[56:57]
	v_add_f64_e32 v[94:95], v[42:43], v[46:47]
	v_add_f64_e32 v[96:97], v[44:45], v[48:49]
	;; [unrolled: 1-line block ×4, first 2 shown]
	v_add_f64_e64 v[108:109], v[10:11], -v[14:15]
	s_wait_dscnt 0x0
	v_add_f64_e32 v[110:111], v[4:5], v[16:17]
	v_add_f64_e64 v[114:115], v[22:23], -v[28:29]
	v_add_f64_e64 v[72:73], v[60:61], -v[10:11]
	;; [unrolled: 1-line block ×6, first 2 shown]
	v_add_f64_e32 v[124:125], v[6:7], v[18:19]
	v_add_f64_e64 v[16:17], v[16:17], -v[30:31]
	v_add_f64_e64 v[126:127], v[20:21], -v[26:27]
	v_add_f64_e32 v[128:129], v[34:35], v[38:39]
	v_add_f64_e32 v[130:131], v[36:37], v[40:41]
	v_add_f64_e64 v[134:135], v[40:41], -v[52:53]
	v_add_f64_e64 v[136:137], v[38:39], -v[50:51]
	;; [unrolled: 1-line block ×3, first 2 shown]
	v_fma_f64 v[62:63], v[62:63], -0.5, v[0:1]
	v_add_f64_e64 v[118:119], v[30:31], -v[26:27]
	v_add_f64_e64 v[122:123], v[26:27], -v[30:31]
	;; [unrolled: 1-line block ×3, first 2 shown]
	v_fma_f64 v[78:79], v[78:79], -0.5, v[4:5]
	v_fma_f64 v[4:5], v[82:83], -0.5, v[4:5]
	v_add_f64_e64 v[82:83], v[44:45], -v[48:49]
	v_fma_f64 v[70:71], v[70:71], -0.5, v[2:3]
	v_fma_f64 v[0:1], v[66:67], -0.5, v[0:1]
	;; [unrolled: 1-line block ×3, first 2 shown]
	v_add_f64_e32 v[58:59], v[64:65], v[58:59]
	v_add_f64_e32 v[64:65], v[76:77], v[80:81]
	v_add_f64_e64 v[18:19], v[22:23], -v[18:19]
	v_fma_f64 v[86:87], v[86:87], -0.5, v[6:7]
	v_fma_f64 v[6:7], v[88:89], -0.5, v[6:7]
	v_add_f64_e64 v[88:89], v[38:39], -v[42:43]
	v_add_f64_e64 v[38:39], v[42:43], -v[38:39]
	v_add_f64_e32 v[76:77], v[84:85], v[90:91]
	v_fma_f64 v[94:95], v[94:95], -0.5, v[34:35]
	v_fma_f64 v[96:97], v[96:97], -0.5, v[36:37]
	;; [unrolled: 1-line block ×4, first 2 shown]
	v_add_f64_e64 v[98:99], v[50:51], -v[46:47]
	v_add_f64_e64 v[100:101], v[46:47], -v[50:51]
	v_add_f64_e32 v[56:57], v[56:57], v[108:109]
	v_add_f64_e64 v[74:75], v[28:29], -v[32:33]
	v_add_f64_e64 v[140:141], v[40:41], -v[44:45]
	;; [unrolled: 1-line block ×4, first 2 shown]
	v_add_f64_e32 v[60:61], v[92:93], v[60:61]
	v_add_f64_e32 v[80:81], v[104:105], v[106:107]
	;; [unrolled: 1-line block ×6, first 2 shown]
	v_add_f64_e64 v[66:67], v[32:33], -v[28:29]
	v_add_f64_e64 v[142:143], v[52:53], -v[48:49]
	v_fma_f64 v[84:85], v[68:69], s[10:11], v[62:63]
	v_fma_f64 v[62:63], v[68:69], s[12:13], v[62:63]
	v_add_f64_e32 v[116:117], v[116:117], v[118:119]
	v_add_f64_e32 v[118:119], v[120:121], v[122:123]
	v_fma_f64 v[106:107], v[112:113], s[10:11], v[78:79]
	v_fma_f64 v[108:109], v[114:115], s[12:13], v[4:5]
	;; [unrolled: 1-line block ×8, first 2 shown]
	v_add_f64_e32 v[8:9], v[58:59], v[8:9]
	v_fma_f64 v[110:111], v[126:127], s[10:11], v[86:87]
	v_fma_f64 v[124:125], v[16:17], s[12:13], v[6:7]
	v_fma_f64 v[6:7], v[16:17], s[10:11], v[6:7]
	v_fma_f64 v[86:87], v[126:127], s[12:13], v[86:87]
	v_fma_f64 v[0:1], v[72:73], s[10:11], v[0:1]
	v_fma_f64 v[128:129], v[134:135], s[10:11], v[94:95]
	v_fma_f64 v[130:131], v[136:137], s[12:13], v[96:97]
	v_fma_f64 v[146:147], v[82:83], s[12:13], v[34:35]
	v_fma_f64 v[148:149], v[138:139], s[10:11], v[36:37]
	v_fma_f64 v[36:37], v[138:139], s[12:13], v[36:37]
	v_fma_f64 v[96:97], v[136:137], s[10:11], v[96:97]
	v_add_f64_e32 v[88:89], v[88:89], v[98:99]
	v_add_f64_e32 v[98:99], v[38:39], v[100:101]
	;; [unrolled: 1-line block ×3, first 2 shown]
	v_fma_f64 v[94:95], v[134:135], s[12:13], v[94:95]
	v_add_f64_e32 v[120:121], v[40:41], v[144:145]
	v_add_f64_e32 v[10:11], v[60:61], v[10:11]
	v_fma_f64 v[4:5], v[114:115], s[10:11], v[4:5]
	v_add_f64_e32 v[18:19], v[20:21], v[26:27]
	v_add_f64_e32 v[20:21], v[22:23], v[28:29]
	;; [unrolled: 1-line block ×4, first 2 shown]
	v_fma_f64 v[34:35], v[82:83], s[10:11], v[34:35]
	v_add_f64_e32 v[66:67], v[132:133], v[66:67]
	v_add_f64_e32 v[100:101], v[140:141], v[142:143]
	v_fma_f64 v[28:29], v[72:73], s[0:1], v[84:85]
	s_wait_alu 0xfffe
	v_fma_f64 v[38:39], v[72:73], s[2:3], v[62:63]
	v_fma_f64 v[58:59], v[114:115], s[0:1], v[106:107]
	;; [unrolled: 1-line block ×17, first 2 shown]
	v_add_f64_e32 v[0:1], v[8:9], v[12:13]
	v_fma_f64 v[104:105], v[136:137], s[0:1], v[36:37]
	v_fma_f64 v[96:97], v[138:139], s[0:1], v[96:97]
	s_mov_b32 s0, 0x372fe950
	s_mov_b32 s1, 0x3fd3c6ef
	v_fma_f64 v[82:83], v[82:83], s[2:3], v[94:95]
	v_fma_f64 v[94:95], v[136:137], s[2:3], v[148:149]
	v_add_f64_e32 v[2:3], v[10:11], v[14:15]
	v_fma_f64 v[68:69], v[112:113], s[2:3], v[4:5]
	v_add_f64_e32 v[4:5], v[18:19], v[30:31]
	v_add_f64_e32 v[6:7], v[20:21], v[32:33]
	;; [unrolled: 1-line block ×4, first 2 shown]
	v_fma_f64 v[102:103], v[134:135], s[2:3], v[34:35]
	s_mov_b32 s2, 0x13813814
	s_mov_b32 s3, 0x3f438138
	s_wait_alu 0xfffe
	v_fma_f64 v[12:13], v[64:65], s[0:1], v[28:29]
	v_fma_f64 v[16:17], v[64:65], s[0:1], v[38:39]
	v_mad_co_u64_u32 v[64:65], null, s4, v25, 0
	v_fma_f64 v[30:31], v[116:117], s[0:1], v[58:59]
	v_fma_f64 v[38:39], v[118:119], s[0:1], v[62:63]
	scratch_load_b64 v[62:63], off, off offset:188 th:TH_LOAD_LU ; 8-byte Folded Reload
	v_fma_f64 v[34:35], v[116:117], s[0:1], v[60:61]
	v_fma_f64 v[20:21], v[76:77], s[0:1], v[40:41]
	;; [unrolled: 1-line block ×20, first 2 shown]
	ds_store_b128 v24, v[0:3]
	ds_store_b128 v24, v[4:7] offset:1792
	ds_store_b128 v24, v[20:23] offset:10752
	;; [unrolled: 1-line block ×14, first 2 shown]
	global_wb scope:SCOPE_SE
	s_wait_loadcnt_dscnt 0x0
	s_barrier_signal -1
	s_barrier_wait -1
	global_inv scope:SCOPE_SE
	ds_load_b128 v[0:3], v24
	ds_load_b128 v[4:7], v24 offset:13440
	ds_load_b128 v[8:11], v24 offset:1792
	s_movk_i32 s0, 0xfd28
	s_mov_b32 s1, -1
	s_wait_alu 0xfffe
	s_mul_u64 s[0:1], s[4:5], s[0:1]
	v_mov_b32_e32 v66, v62
	s_delay_alu instid0(VALU_DEP_1) | instskip(NEXT) | instid1(VALU_DEP_1)
	v_mad_co_u64_u32 v[62:63], null, s6, v66, 0
	v_mad_co_u64_u32 v[12:13], null, s7, v66, v[63:64]
	s_mul_u64 s[6:7], s[4:5], 0x348
	s_delay_alu instid0(VALU_DEP_1)
	v_mov_b32_e32 v63, v12
	v_mad_co_u64_u32 v[16:17], null, s5, v25, v[65:66]
	ds_load_b128 v[12:15], v24 offset:15232
	s_wait_alu 0xfffe
	s_lshl_b64 s[4:5], s[6:7], 4
	v_lshlrev_b64_e32 v[57:58], 4, v[62:63]
	s_lshl_b64 s[6:7], s[0:1], 4
	v_mov_b32_e32 v65, v16
	ds_load_b128 v[16:19], v24 offset:3584
	ds_load_b128 v[20:23], v24 offset:17024
	;; [unrolled: 1-line block ×4, first 2 shown]
	s_clause 0x1
	scratch_load_b128 v[121:124], off, off offset:28 th:TH_LOAD_LU
	scratch_load_b128 v[117:120], off, off offset:12 th:TH_LOAD_LU
	ds_load_b128 v[33:36], v24 offset:18816
	ds_load_b128 v[37:40], v24 offset:7168
	v_lshlrev_b64_e32 v[63:64], 4, v[64:65]
	v_add_co_u32 v65, s0, s8, v57
	s_wait_alu 0xf1ff
	v_add_co_ci_u32_e64 v116, s0, s9, v58, s0
	s_wait_loadcnt_dscnt 0x109
	v_mul_f64_e32 v[59:60], v[123:124], v[2:3]
	v_mul_f64_e32 v[61:62], v[123:124], v[0:1]
	scratch_load_b128 v[123:126], off, off offset:44 th:TH_LOAD_LU ; 16-byte Folded Reload
	ds_load_b128 v[41:44], v24 offset:20608
	ds_load_b128 v[45:48], v24 offset:8960
	s_wait_loadcnt_dscnt 0x10a
	v_mul_f64_e32 v[66:67], v[119:120], v[6:7]
	v_mul_f64_e32 v[68:69], v[119:120], v[4:5]
	v_fma_f64 v[0:1], v[121:122], v[0:1], v[59:60]
	v_fma_f64 v[2:3], v[121:122], v[2:3], -v[61:62]
	v_add_co_u32 v59, s0, v65, v63
	v_fma_f64 v[4:5], v[117:118], v[4:5], v[66:67]
	v_fma_f64 v[6:7], v[117:118], v[6:7], -v[68:69]
	s_wait_alu 0xf1ff
	v_add_co_ci_u32_e64 v60, s0, v116, v64, s0
	s_wait_alu 0xfffe
	v_add_co_u32 v61, s0, v59, s4
	s_wait_alu 0xf1ff
	s_delay_alu instid0(VALU_DEP_2) | instskip(NEXT) | instid1(VALU_DEP_2)
	v_add_co_ci_u32_e64 v62, s0, s5, v60, s0
	v_add_co_u32 v63, s0, v61, s6
	s_wait_alu 0xf1ff
	s_delay_alu instid0(VALU_DEP_2) | instskip(NEXT) | instid1(VALU_DEP_2)
	v_add_co_ci_u32_e64 v64, s0, s7, v62, s0
	;; [unrolled: 4-line block ×3, first 2 shown]
	v_add_co_u32 v69, s0, v67, s6
	v_mul_f64_e32 v[0:1], s[2:3], v[0:1]
	v_mul_f64_e32 v[2:3], s[2:3], v[2:3]
	;; [unrolled: 1-line block ×4, first 2 shown]
	s_wait_loadcnt_dscnt 0x9
	v_mul_f64_e32 v[70:71], v[125:126], v[10:11]
	v_mul_f64_e32 v[72:73], v[125:126], v[8:9]
	scratch_load_b128 v[125:128], off, off offset:60 th:TH_LOAD_LU ; 16-byte Folded Reload
	ds_load_b128 v[49:52], v24 offset:22400
	ds_load_b128 v[53:56], v24 offset:24192
	s_clause 0x1
	scratch_load_b128 v[131:134], off, off offset:92 th:TH_LOAD_LU
	scratch_load_b128 v[141:144], off, off offset:156 th:TH_LOAD_LU
	v_fma_f64 v[8:9], v[123:124], v[8:9], v[70:71]
	v_fma_f64 v[10:11], v[123:124], v[10:11], -v[72:73]
	s_wait_alu 0xf1ff
	v_add_co_ci_u32_e64 v70, s0, s7, v68, s0
	v_add_co_u32 v71, s0, v69, s4
	s_wait_alu 0xf1ff
	s_delay_alu instid0(VALU_DEP_2) | instskip(NEXT) | instid1(VALU_DEP_2)
	v_add_co_ci_u32_e64 v72, s0, s5, v70, s0
	v_add_co_u32 v73, s0, v71, s6
	v_mul_f64_e32 v[8:9], s[2:3], v[8:9]
	v_mul_f64_e32 v[10:11], s[2:3], v[10:11]
	s_wait_loadcnt_dscnt 0x20a
	v_mul_f64_e32 v[74:75], v[127:128], v[14:15]
	v_mul_f64_e32 v[76:77], v[127:128], v[12:13]
	scratch_load_b128 v[127:130], off, off offset:76 th:TH_LOAD_LU ; 16-byte Folded Reload
	s_wait_loadcnt_dscnt 0x209
	v_mul_f64_e32 v[78:79], v[133:134], v[18:19]
	v_mul_f64_e32 v[80:81], v[133:134], v[16:17]
	scratch_load_b128 v[133:136], off, off offset:108 th:TH_LOAD_LU ; 16-byte Folded Reload
	;; [unrolled: 4-line block ×3, first 2 shown]
	v_fma_f64 v[12:13], v[125:126], v[12:13], v[74:75]
	v_fma_f64 v[14:15], v[125:126], v[14:15], -v[76:77]
	s_wait_alu 0xf1ff
	v_add_co_ci_u32_e64 v74, s0, s7, v72, s0
	v_fma_f64 v[16:17], v[131:132], v[16:17], v[78:79]
	v_fma_f64 v[18:19], v[131:132], v[18:19], -v[80:81]
	v_fma_f64 v[37:38], v[141:142], v[37:38], v[92:93]
	v_fma_f64 v[39:40], v[141:142], v[39:40], -v[94:95]
	v_mul_f64_e32 v[12:13], s[2:3], v[12:13]
	v_mul_f64_e32 v[14:15], s[2:3], v[14:15]
	;; [unrolled: 1-line block ×4, first 2 shown]
	s_wait_loadcnt 0x2
	v_mul_f64_e32 v[57:58], v[129:130], v[22:23]
	v_mul_f64_e32 v[82:83], v[129:130], v[20:21]
	s_wait_loadcnt 0x1
	v_mul_f64_e32 v[84:85], v[135:136], v[27:28]
	v_mul_f64_e32 v[86:87], v[135:136], v[25:26]
	scratch_load_b128 v[135:138], off, off offset:124 th:TH_LOAD_LU ; 16-byte Folded Reload
	s_wait_loadcnt_dscnt 0x102
	v_mul_f64_e32 v[100:101], v[145:146], v[47:48]
	v_mul_f64_e32 v[102:103], v[145:146], v[45:46]
	scratch_load_b128 v[145:148], off, off offset:196 th:TH_LOAD_LU ; 16-byte Folded Reload
	v_fma_f64 v[20:21], v[127:128], v[20:21], v[57:58]
	v_fma_f64 v[22:23], v[127:128], v[22:23], -v[82:83]
	v_fma_f64 v[25:26], v[133:134], v[25:26], v[84:85]
	v_fma_f64 v[27:28], v[133:134], v[27:28], -v[86:87]
	;; [unrolled: 2-line block ×3, first 2 shown]
	v_mul_f64_e32 v[20:21], s[2:3], v[20:21]
	v_mul_f64_e32 v[22:23], s[2:3], v[22:23]
	;; [unrolled: 1-line block ×4, first 2 shown]
	s_wait_loadcnt 0x1
	v_mul_f64_e32 v[88:89], v[137:138], v[35:36]
	v_mul_f64_e32 v[90:91], v[137:138], v[33:34]
	scratch_load_b128 v[137:140], off, off offset:140 th:TH_LOAD_LU ; 16-byte Folded Reload
	s_wait_loadcnt_dscnt 0x101
	v_mul_f64_e32 v[104:105], v[147:148], v[51:52]
	v_mul_f64_e32 v[106:107], v[147:148], v[49:50]
	scratch_load_b128 v[147:150], off, off offset:212 th:TH_LOAD_LU ; 16-byte Folded Reload
	v_fma_f64 v[33:34], v[135:136], v[33:34], v[88:89]
	v_fma_f64 v[35:36], v[135:136], v[35:36], -v[90:91]
	v_fma_f64 v[49:50], v[145:146], v[49:50], v[104:105]
	v_fma_f64 v[51:52], v[145:146], v[51:52], -v[106:107]
	s_wait_loadcnt 0x1
	v_mul_f64_e32 v[96:97], v[139:140], v[43:44]
	v_mul_f64_e32 v[98:99], v[139:140], v[41:42]
	s_wait_loadcnt 0x0
	v_mul_f64_e32 v[108:109], v[149:150], v[31:32]
	v_mul_f64_e32 v[110:111], v[149:150], v[29:30]
	scratch_load_b128 v[149:152], off, off offset:228 th:TH_LOAD_LU ; 16-byte Folded Reload
	s_clause 0x2
	global_store_b128 v[59:60], v[0:3], off
	global_store_b128 v[61:62], v[4:7], off
	;; [unrolled: 1-line block ×3, first 2 shown]
	v_add_co_u32 v0, s0, v73, s4
	s_clause 0x1
	global_store_b128 v[67:68], v[12:15], off
	global_store_b128 v[69:70], v[16:19], off
	;; [unrolled: 1-line block ×4, first 2 shown]
	s_wait_alu 0xf1ff
	v_add_co_ci_u32_e64 v1, s0, s5, v74, s0
	v_add_co_u32 v2, s0, v0, s6
	s_wait_alu 0xf1ff
	s_delay_alu instid0(VALU_DEP_2) | instskip(NEXT) | instid1(VALU_DEP_2)
	v_add_co_ci_u32_e64 v3, s0, s7, v1, s0
	v_add_co_u32 v4, s0, v2, s4
	s_wait_alu 0xf1ff
	s_delay_alu instid0(VALU_DEP_2) | instskip(NEXT) | instid1(VALU_DEP_2)
	;; [unrolled: 4-line block ×4, first 2 shown]
	v_add_co_ci_u32_e64 v9, s0, s5, v7, s0
	v_add_co_u32 v10, s0, v8, s6
	v_fma_f64 v[41:42], v[137:138], v[41:42], v[96:97]
	v_fma_f64 v[43:44], v[137:138], v[43:44], -v[98:99]
	s_wait_alu 0xf1ff
	v_add_co_ci_u32_e64 v11, s0, s7, v9, s0
	v_fma_f64 v[57:58], v[147:148], v[29:30], v[108:109]
	v_fma_f64 v[65:66], v[147:148], v[31:32], -v[110:111]
	v_mul_f64_e32 v[29:30], s[2:3], v[33:34]
	v_mul_f64_e32 v[31:32], s[2:3], v[35:36]
	;; [unrolled: 1-line block ×12, first 2 shown]
	global_store_b128 v[0:1], v[29:32], off
	v_add_co_u32 v0, s0, v10, s4
	global_store_b128 v[2:3], v[33:36], off
	s_wait_alu 0xf1ff
	v_add_co_ci_u32_e64 v1, s0, s5, v11, s0
	s_wait_loadcnt_dscnt 0x0
	v_mul_f64_e32 v[112:113], v[151:152], v[55:56]
	v_mul_f64_e32 v[114:115], v[151:152], v[53:54]
	s_delay_alu instid0(VALU_DEP_2) | instskip(NEXT) | instid1(VALU_DEP_2)
	v_fma_f64 v[53:54], v[149:150], v[53:54], v[112:113]
	v_fma_f64 v[55:56], v[149:150], v[55:56], -v[114:115]
	s_delay_alu instid0(VALU_DEP_2) | instskip(NEXT) | instid1(VALU_DEP_2)
	v_mul_f64_e32 v[53:54], s[2:3], v[53:54]
	v_mul_f64_e32 v[55:56], s[2:3], v[55:56]
	global_store_b128 v[4:5], v[37:40], off
	global_store_b128 v[6:7], v[41:44], off
	;; [unrolled: 1-line block ×5, first 2 shown]
	s_and_b32 exec_lo, exec_lo, vcc_lo
	s_cbranch_execz .LBB0_47
; %bb.46:
	scratch_load_b64 v[16:17], off, off offset:4 th:TH_LOAD_LU ; 8-byte Folded Reload
	s_wait_loadcnt 0x0
	global_load_b128 v[2:5], v[16:17], off offset:12544
	ds_load_b128 v[6:9], v24 offset:12544
	ds_load_b128 v[10:13], v24 offset:25984
	s_wait_loadcnt_dscnt 0x1
	v_mul_f64_e32 v[14:15], v[8:9], v[4:5]
	v_mul_f64_e32 v[4:5], v[6:7], v[4:5]
	s_delay_alu instid0(VALU_DEP_2) | instskip(NEXT) | instid1(VALU_DEP_2)
	v_fma_f64 v[6:7], v[6:7], v[2:3], v[14:15]
	v_fma_f64 v[4:5], v[2:3], v[8:9], -v[4:5]
	s_delay_alu instid0(VALU_DEP_2) | instskip(NEXT) | instid1(VALU_DEP_2)
	v_mul_f64_e32 v[2:3], s[2:3], v[6:7]
	v_mul_f64_e32 v[4:5], s[2:3], v[4:5]
	v_add_co_u32 v6, vcc_lo, v0, s6
	s_wait_alu 0xfffd
	v_add_co_ci_u32_e32 v7, vcc_lo, s7, v1, vcc_lo
	global_store_b128 v[6:7], v[2:5], off
	global_load_b128 v[0:3], v[16:17], off offset:25984
	s_wait_loadcnt_dscnt 0x0
	v_mul_f64_e32 v[4:5], v[12:13], v[2:3]
	v_mul_f64_e32 v[2:3], v[10:11], v[2:3]
	s_delay_alu instid0(VALU_DEP_2) | instskip(NEXT) | instid1(VALU_DEP_2)
	v_fma_f64 v[4:5], v[10:11], v[0:1], v[4:5]
	v_fma_f64 v[2:3], v[0:1], v[12:13], -v[2:3]
	s_delay_alu instid0(VALU_DEP_2) | instskip(NEXT) | instid1(VALU_DEP_2)
	v_mul_f64_e32 v[0:1], s[2:3], v[4:5]
	v_mul_f64_e32 v[2:3], s[2:3], v[2:3]
	v_add_co_u32 v4, vcc_lo, v6, s4
	s_wait_alu 0xfffd
	v_add_co_ci_u32_e32 v5, vcc_lo, s5, v7, vcc_lo
	global_store_b128 v[4:5], v[0:3], off
.LBB0_47:
	s_nop 0
	s_sendmsg sendmsg(MSG_DEALLOC_VGPRS)
	s_endpgm
	.section	.rodata,"a",@progbits
	.p2align	6, 0x0
	.amdhsa_kernel bluestein_single_back_len1680_dim1_dp_op_CI_CI
		.amdhsa_group_segment_fixed_size 26880
		.amdhsa_private_segment_fixed_size 384
		.amdhsa_kernarg_size 104
		.amdhsa_user_sgpr_count 2
		.amdhsa_user_sgpr_dispatch_ptr 0
		.amdhsa_user_sgpr_queue_ptr 0
		.amdhsa_user_sgpr_kernarg_segment_ptr 1
		.amdhsa_user_sgpr_dispatch_id 0
		.amdhsa_user_sgpr_private_segment_size 0
		.amdhsa_wavefront_size32 1
		.amdhsa_uses_dynamic_stack 0
		.amdhsa_enable_private_segment 1
		.amdhsa_system_sgpr_workgroup_id_x 1
		.amdhsa_system_sgpr_workgroup_id_y 0
		.amdhsa_system_sgpr_workgroup_id_z 0
		.amdhsa_system_sgpr_workgroup_info 0
		.amdhsa_system_vgpr_workitem_id 0
		.amdhsa_next_free_vgpr 256
		.amdhsa_next_free_sgpr 32
		.amdhsa_reserve_vcc 1
		.amdhsa_float_round_mode_32 0
		.amdhsa_float_round_mode_16_64 0
		.amdhsa_float_denorm_mode_32 3
		.amdhsa_float_denorm_mode_16_64 3
		.amdhsa_fp16_overflow 0
		.amdhsa_workgroup_processor_mode 1
		.amdhsa_memory_ordered 1
		.amdhsa_forward_progress 0
		.amdhsa_round_robin_scheduling 0
		.amdhsa_exception_fp_ieee_invalid_op 0
		.amdhsa_exception_fp_denorm_src 0
		.amdhsa_exception_fp_ieee_div_zero 0
		.amdhsa_exception_fp_ieee_overflow 0
		.amdhsa_exception_fp_ieee_underflow 0
		.amdhsa_exception_fp_ieee_inexact 0
		.amdhsa_exception_int_div_zero 0
	.end_amdhsa_kernel
	.text
.Lfunc_end0:
	.size	bluestein_single_back_len1680_dim1_dp_op_CI_CI, .Lfunc_end0-bluestein_single_back_len1680_dim1_dp_op_CI_CI
                                        ; -- End function
	.section	.AMDGPU.csdata,"",@progbits
; Kernel info:
; codeLenInByte = 24864
; NumSgprs: 34
; NumVgprs: 256
; ScratchSize: 384
; MemoryBound: 0
; FloatMode: 240
; IeeeMode: 1
; LDSByteSize: 26880 bytes/workgroup (compile time only)
; SGPRBlocks: 4
; VGPRBlocks: 31
; NumSGPRsForWavesPerEU: 34
; NumVGPRsForWavesPerEU: 256
; Occupancy: 4
; WaveLimiterHint : 1
; COMPUTE_PGM_RSRC2:SCRATCH_EN: 1
; COMPUTE_PGM_RSRC2:USER_SGPR: 2
; COMPUTE_PGM_RSRC2:TRAP_HANDLER: 0
; COMPUTE_PGM_RSRC2:TGID_X_EN: 1
; COMPUTE_PGM_RSRC2:TGID_Y_EN: 0
; COMPUTE_PGM_RSRC2:TGID_Z_EN: 0
; COMPUTE_PGM_RSRC2:TIDIG_COMP_CNT: 0
	.text
	.p2alignl 7, 3214868480
	.fill 96, 4, 3214868480
	.type	__hip_cuid_870da11c625eaedb,@object ; @__hip_cuid_870da11c625eaedb
	.section	.bss,"aw",@nobits
	.globl	__hip_cuid_870da11c625eaedb
__hip_cuid_870da11c625eaedb:
	.byte	0                               ; 0x0
	.size	__hip_cuid_870da11c625eaedb, 1

	.ident	"AMD clang version 19.0.0git (https://github.com/RadeonOpenCompute/llvm-project roc-6.4.0 25133 c7fe45cf4b819c5991fe208aaa96edf142730f1d)"
	.section	".note.GNU-stack","",@progbits
	.addrsig
	.addrsig_sym __hip_cuid_870da11c625eaedb
	.amdgpu_metadata
---
amdhsa.kernels:
  - .args:
      - .actual_access:  read_only
        .address_space:  global
        .offset:         0
        .size:           8
        .value_kind:     global_buffer
      - .actual_access:  read_only
        .address_space:  global
        .offset:         8
        .size:           8
        .value_kind:     global_buffer
      - .actual_access:  read_only
        .address_space:  global
        .offset:         16
        .size:           8
        .value_kind:     global_buffer
      - .actual_access:  read_only
        .address_space:  global
        .offset:         24
        .size:           8
        .value_kind:     global_buffer
      - .actual_access:  read_only
        .address_space:  global
        .offset:         32
        .size:           8
        .value_kind:     global_buffer
      - .offset:         40
        .size:           8
        .value_kind:     by_value
      - .address_space:  global
        .offset:         48
        .size:           8
        .value_kind:     global_buffer
      - .address_space:  global
        .offset:         56
        .size:           8
        .value_kind:     global_buffer
      - .address_space:  global
        .offset:         64
        .size:           8
        .value_kind:     global_buffer
      - .address_space:  global
        .offset:         72
        .size:           8
        .value_kind:     global_buffer
      - .offset:         80
        .size:           4
        .value_kind:     by_value
      - .address_space:  global
        .offset:         88
        .size:           8
        .value_kind:     global_buffer
      - .address_space:  global
        .offset:         96
        .size:           8
        .value_kind:     global_buffer
    .group_segment_fixed_size: 26880
    .kernarg_segment_align: 8
    .kernarg_segment_size: 104
    .language:       OpenCL C
    .language_version:
      - 2
      - 0
    .max_flat_workgroup_size: 112
    .name:           bluestein_single_back_len1680_dim1_dp_op_CI_CI
    .private_segment_fixed_size: 384
    .sgpr_count:     34
    .sgpr_spill_count: 0
    .symbol:         bluestein_single_back_len1680_dim1_dp_op_CI_CI.kd
    .uniform_work_group_size: 1
    .uses_dynamic_stack: false
    .vgpr_count:     256
    .vgpr_spill_count: 95
    .wavefront_size: 32
    .workgroup_processor_mode: 1
amdhsa.target:   amdgcn-amd-amdhsa--gfx1201
amdhsa.version:
  - 1
  - 2
...

	.end_amdgpu_metadata
